;; amdgpu-corpus repo=ROCm/rocFFT kind=compiled arch=gfx906 opt=O3
	.text
	.amdgcn_target "amdgcn-amd-amdhsa--gfx906"
	.amdhsa_code_object_version 6
	.protected	fft_rtc_fwd_len1156_factors_17_2_17_2_wgs_204_tpt_68_halfLds_dp_ip_CI_unitstride_sbrr_dirReg ; -- Begin function fft_rtc_fwd_len1156_factors_17_2_17_2_wgs_204_tpt_68_halfLds_dp_ip_CI_unitstride_sbrr_dirReg
	.globl	fft_rtc_fwd_len1156_factors_17_2_17_2_wgs_204_tpt_68_halfLds_dp_ip_CI_unitstride_sbrr_dirReg
	.p2align	8
	.type	fft_rtc_fwd_len1156_factors_17_2_17_2_wgs_204_tpt_68_halfLds_dp_ip_CI_unitstride_sbrr_dirReg,@function
fft_rtc_fwd_len1156_factors_17_2_17_2_wgs_204_tpt_68_halfLds_dp_ip_CI_unitstride_sbrr_dirReg: ; @fft_rtc_fwd_len1156_factors_17_2_17_2_wgs_204_tpt_68_halfLds_dp_ip_CI_unitstride_sbrr_dirReg
; %bb.0:
	v_mul_u32_u24_e32 v1, 0x3c4, v0
	s_load_dwordx2 s[12:13], s[4:5], 0x50
	s_load_dwordx4 s[8:11], s[4:5], 0x0
	s_load_dwordx2 s[2:3], s[4:5], 0x18
	v_lshrrev_b32_e32 v1, 16, v1
	v_mad_u64_u32 v[68:69], s[0:1], s6, 3, v[1:2]
	v_mov_b32_e32 v3, 0
	s_waitcnt lgkmcnt(0)
	v_cmp_lt_u64_e64 s[0:1], s[10:11], 2
	v_mov_b32_e32 v69, v3
	v_mov_b32_e32 v1, 0
	;; [unrolled: 1-line block ×3, first 2 shown]
	s_and_b64 vcc, exec, s[0:1]
	v_mov_b32_e32 v2, 0
	v_mov_b32_e32 v8, v69
	s_cbranch_vccnz .LBB0_8
; %bb.1:
	s_load_dwordx2 s[0:1], s[4:5], 0x10
	s_add_u32 s6, s2, 8
	s_addc_u32 s7, s3, 0
	v_mov_b32_e32 v1, 0
	v_mov_b32_e32 v5, v68
	s_waitcnt lgkmcnt(0)
	s_add_u32 s16, s0, 8
	s_mov_b64 s[14:15], 1
	v_mov_b32_e32 v2, 0
	s_addc_u32 s17, s1, 0
	v_mov_b32_e32 v6, v69
.LBB0_2:                                ; =>This Inner Loop Header: Depth=1
	s_load_dwordx2 s[18:19], s[16:17], 0x0
                                        ; implicit-def: $vgpr7_vgpr8
	s_waitcnt lgkmcnt(0)
	v_or_b32_e32 v4, s19, v6
	v_cmp_ne_u64_e32 vcc, 0, v[3:4]
	s_and_saveexec_b64 s[0:1], vcc
	s_xor_b64 s[20:21], exec, s[0:1]
	s_cbranch_execz .LBB0_4
; %bb.3:                                ;   in Loop: Header=BB0_2 Depth=1
	v_cvt_f32_u32_e32 v4, s18
	v_cvt_f32_u32_e32 v7, s19
	s_sub_u32 s0, 0, s18
	s_subb_u32 s1, 0, s19
	v_mac_f32_e32 v4, 0x4f800000, v7
	v_rcp_f32_e32 v4, v4
	v_mul_f32_e32 v4, 0x5f7ffffc, v4
	v_mul_f32_e32 v7, 0x2f800000, v4
	v_trunc_f32_e32 v7, v7
	v_mac_f32_e32 v4, 0xcf800000, v7
	v_cvt_u32_f32_e32 v7, v7
	v_cvt_u32_f32_e32 v4, v4
	v_mul_lo_u32 v8, s0, v7
	v_mul_hi_u32 v9, s0, v4
	v_mul_lo_u32 v11, s1, v4
	v_mul_lo_u32 v10, s0, v4
	v_add_u32_e32 v8, v9, v8
	v_add_u32_e32 v8, v8, v11
	v_mul_hi_u32 v9, v4, v10
	v_mul_lo_u32 v11, v4, v8
	v_mul_hi_u32 v13, v4, v8
	v_mul_hi_u32 v12, v7, v10
	v_mul_lo_u32 v10, v7, v10
	v_mul_hi_u32 v14, v7, v8
	v_add_co_u32_e32 v9, vcc, v9, v11
	v_addc_co_u32_e32 v11, vcc, 0, v13, vcc
	v_mul_lo_u32 v8, v7, v8
	v_add_co_u32_e32 v9, vcc, v9, v10
	v_addc_co_u32_e32 v9, vcc, v11, v12, vcc
	v_addc_co_u32_e32 v10, vcc, 0, v14, vcc
	v_add_co_u32_e32 v8, vcc, v9, v8
	v_addc_co_u32_e32 v9, vcc, 0, v10, vcc
	v_add_co_u32_e32 v4, vcc, v4, v8
	v_addc_co_u32_e32 v7, vcc, v7, v9, vcc
	v_mul_lo_u32 v8, s0, v7
	v_mul_hi_u32 v9, s0, v4
	v_mul_lo_u32 v10, s1, v4
	v_mul_lo_u32 v11, s0, v4
	v_add_u32_e32 v8, v9, v8
	v_add_u32_e32 v8, v8, v10
	v_mul_lo_u32 v12, v4, v8
	v_mul_hi_u32 v13, v4, v11
	v_mul_hi_u32 v14, v4, v8
	;; [unrolled: 1-line block ×3, first 2 shown]
	v_mul_lo_u32 v11, v7, v11
	v_mul_hi_u32 v9, v7, v8
	v_add_co_u32_e32 v12, vcc, v13, v12
	v_addc_co_u32_e32 v13, vcc, 0, v14, vcc
	v_mul_lo_u32 v8, v7, v8
	v_add_co_u32_e32 v11, vcc, v12, v11
	v_addc_co_u32_e32 v10, vcc, v13, v10, vcc
	v_addc_co_u32_e32 v9, vcc, 0, v9, vcc
	v_add_co_u32_e32 v8, vcc, v10, v8
	v_addc_co_u32_e32 v9, vcc, 0, v9, vcc
	v_add_co_u32_e32 v4, vcc, v4, v8
	v_addc_co_u32_e32 v9, vcc, v7, v9, vcc
	v_mad_u64_u32 v[7:8], s[0:1], v5, v9, 0
	v_mul_hi_u32 v10, v5, v4
	v_add_co_u32_e32 v11, vcc, v10, v7
	v_addc_co_u32_e32 v12, vcc, 0, v8, vcc
	v_mad_u64_u32 v[7:8], s[0:1], v6, v4, 0
	v_mad_u64_u32 v[9:10], s[0:1], v6, v9, 0
	v_add_co_u32_e32 v4, vcc, v11, v7
	v_addc_co_u32_e32 v4, vcc, v12, v8, vcc
	v_addc_co_u32_e32 v7, vcc, 0, v10, vcc
	v_add_co_u32_e32 v4, vcc, v4, v9
	v_addc_co_u32_e32 v9, vcc, 0, v7, vcc
	v_mul_lo_u32 v10, s19, v4
	v_mul_lo_u32 v11, s18, v9
	v_mad_u64_u32 v[7:8], s[0:1], s18, v4, 0
	v_add3_u32 v8, v8, v11, v10
	v_sub_u32_e32 v10, v6, v8
	v_mov_b32_e32 v11, s19
	v_sub_co_u32_e32 v7, vcc, v5, v7
	v_subb_co_u32_e64 v10, s[0:1], v10, v11, vcc
	v_subrev_co_u32_e64 v11, s[0:1], s18, v7
	v_subbrev_co_u32_e64 v10, s[0:1], 0, v10, s[0:1]
	v_cmp_le_u32_e64 s[0:1], s19, v10
	v_cndmask_b32_e64 v12, 0, -1, s[0:1]
	v_cmp_le_u32_e64 s[0:1], s18, v11
	v_cndmask_b32_e64 v11, 0, -1, s[0:1]
	v_cmp_eq_u32_e64 s[0:1], s19, v10
	v_cndmask_b32_e64 v10, v12, v11, s[0:1]
	v_add_co_u32_e64 v11, s[0:1], 2, v4
	v_addc_co_u32_e64 v12, s[0:1], 0, v9, s[0:1]
	v_add_co_u32_e64 v13, s[0:1], 1, v4
	v_addc_co_u32_e64 v14, s[0:1], 0, v9, s[0:1]
	v_subb_co_u32_e32 v8, vcc, v6, v8, vcc
	v_cmp_ne_u32_e64 s[0:1], 0, v10
	v_cmp_le_u32_e32 vcc, s19, v8
	v_cndmask_b32_e64 v10, v14, v12, s[0:1]
	v_cndmask_b32_e64 v12, 0, -1, vcc
	v_cmp_le_u32_e32 vcc, s18, v7
	v_cndmask_b32_e64 v7, 0, -1, vcc
	v_cmp_eq_u32_e32 vcc, s19, v8
	v_cndmask_b32_e32 v7, v12, v7, vcc
	v_cmp_ne_u32_e32 vcc, 0, v7
	v_cndmask_b32_e64 v7, v13, v11, s[0:1]
	v_cndmask_b32_e32 v8, v9, v10, vcc
	v_cndmask_b32_e32 v7, v4, v7, vcc
.LBB0_4:                                ;   in Loop: Header=BB0_2 Depth=1
	s_andn2_saveexec_b64 s[0:1], s[20:21]
	s_cbranch_execz .LBB0_6
; %bb.5:                                ;   in Loop: Header=BB0_2 Depth=1
	v_cvt_f32_u32_e32 v4, s18
	s_sub_i32 s20, 0, s18
	v_rcp_iflag_f32_e32 v4, v4
	v_mul_f32_e32 v4, 0x4f7ffffe, v4
	v_cvt_u32_f32_e32 v4, v4
	v_mul_lo_u32 v7, s20, v4
	v_mul_hi_u32 v7, v4, v7
	v_add_u32_e32 v4, v4, v7
	v_mul_hi_u32 v4, v5, v4
	v_mul_lo_u32 v7, v4, s18
	v_add_u32_e32 v8, 1, v4
	v_sub_u32_e32 v7, v5, v7
	v_subrev_u32_e32 v9, s18, v7
	v_cmp_le_u32_e32 vcc, s18, v7
	v_cndmask_b32_e32 v7, v7, v9, vcc
	v_cndmask_b32_e32 v4, v4, v8, vcc
	v_add_u32_e32 v8, 1, v4
	v_cmp_le_u32_e32 vcc, s18, v7
	v_cndmask_b32_e32 v7, v4, v8, vcc
	v_mov_b32_e32 v8, v3
.LBB0_6:                                ;   in Loop: Header=BB0_2 Depth=1
	s_or_b64 exec, exec, s[0:1]
	v_mul_lo_u32 v4, v8, s18
	v_mul_lo_u32 v11, v7, s19
	v_mad_u64_u32 v[9:10], s[0:1], v7, s18, 0
	s_load_dwordx2 s[0:1], s[6:7], 0x0
	s_add_u32 s14, s14, 1
	v_add3_u32 v4, v10, v11, v4
	v_sub_co_u32_e32 v5, vcc, v5, v9
	v_subb_co_u32_e32 v4, vcc, v6, v4, vcc
	s_waitcnt lgkmcnt(0)
	v_mul_lo_u32 v4, s0, v4
	v_mul_lo_u32 v6, s1, v5
	v_mad_u64_u32 v[1:2], s[0:1], s0, v5, v[1:2]
	s_addc_u32 s15, s15, 0
	s_add_u32 s6, s6, 8
	v_add3_u32 v2, v6, v2, v4
	v_mov_b32_e32 v4, s10
	v_mov_b32_e32 v5, s11
	s_addc_u32 s7, s7, 0
	v_cmp_ge_u64_e32 vcc, s[14:15], v[4:5]
	s_add_u32 s16, s16, 8
	s_addc_u32 s17, s17, 0
	s_cbranch_vccnz .LBB0_8
; %bb.7:                                ;   in Loop: Header=BB0_2 Depth=1
	v_mov_b32_e32 v5, v7
	v_mov_b32_e32 v6, v8
	s_branch .LBB0_2
.LBB0_8:
	s_lshl_b64 s[0:1], s[10:11], 3
	s_add_u32 s0, s2, s0
	s_addc_u32 s1, s3, s1
	s_load_dwordx2 s[2:3], s[0:1], 0x0
	s_load_dwordx2 s[6:7], s[4:5], 0x20
                                        ; implicit-def: $vgpr46_vgpr47
                                        ; implicit-def: $vgpr50_vgpr51
                                        ; implicit-def: $vgpr54_vgpr55
                                        ; implicit-def: $vgpr38_vgpr39
                                        ; implicit-def: $vgpr30_vgpr31
                                        ; implicit-def: $vgpr18_vgpr19
                                        ; implicit-def: $vgpr10_vgpr11
                                        ; implicit-def: $vgpr14_vgpr15
                                        ; implicit-def: $vgpr22_vgpr23
                                        ; implicit-def: $vgpr34_vgpr35
                                        ; implicit-def: $vgpr42_vgpr43
                                        ; implicit-def: $vgpr58_vgpr59
                                        ; implicit-def: $vgpr62_vgpr63
                                        ; implicit-def: $vgpr66_vgpr67
                                        ; implicit-def: $vgpr26_vgpr27
	s_waitcnt lgkmcnt(0)
	v_mad_u64_u32 v[1:2], s[0:1], s2, v7, v[1:2]
	v_mul_lo_u32 v3, s2, v8
	v_mul_lo_u32 v4, s3, v7
	s_mov_b32 s0, 0x3c3c3c4
	v_mul_hi_u32 v5, v0, s0
	v_cmp_gt_u64_e64 s[0:1], s[6:7], v[7:8]
	v_add3_u32 v2, v4, v2, v3
	v_lshlrev_b64 v[96:97], 4, v[1:2]
	v_mul_u32_u24_e32 v3, 0x44, v5
	v_sub_u32_e32 v98, v0, v3
                                        ; implicit-def: $vgpr2_vgpr3
                                        ; implicit-def: $vgpr6_vgpr7
	s_and_saveexec_b64 s[2:3], s[0:1]
	s_cbranch_execz .LBB0_10
; %bb.9:
	v_mov_b32_e32 v99, 0
	v_mov_b32_e32 v0, s13
	v_add_co_u32_e32 v2, vcc, s12, v96
	v_addc_co_u32_e32 v3, vcc, v0, v97, vcc
	v_lshlrev_b64 v[0:1], 4, v[98:99]
	s_movk_i32 s4, 0x1000
	v_add_co_u32_e32 v0, vcc, v2, v0
	v_addc_co_u32_e32 v1, vcc, v3, v1, vcc
	v_add_co_u32_e32 v69, vcc, s4, v0
	v_addc_co_u32_e32 v70, vcc, 0, v1, vcc
	s_movk_i32 s4, 0x2000
	v_add_co_u32_e32 v71, vcc, s4, v0
	v_addc_co_u32_e32 v72, vcc, 0, v1, vcc
	s_movk_i32 s4, 0x3000
	v_add_co_u32_e32 v73, vcc, s4, v0
	v_addc_co_u32_e32 v74, vcc, 0, v1, vcc
	v_add_co_u32_e32 v75, vcc, 0x4000, v0
	global_load_dwordx4 v[24:27], v[0:1], off
	global_load_dwordx4 v[64:67], v[0:1], off offset:1088
	global_load_dwordx4 v[60:63], v[0:1], off offset:2176
	;; [unrolled: 1-line block ×3, first 2 shown]
	v_addc_co_u32_e32 v76, vcc, 0, v1, vcc
	global_load_dwordx4 v[40:43], v[69:70], off offset:256
	global_load_dwordx4 v[32:35], v[69:70], off offset:1344
	;; [unrolled: 1-line block ×13, first 2 shown]
.LBB0_10:
	s_or_b64 exec, exec, s[2:3]
	s_waitcnt vmcnt(15)
	v_add_f64 v[69:70], v[64:65], v[24:25]
	s_waitcnt vmcnt(0)
	v_add_f64 v[71:72], v[44:45], v[64:65]
	s_mov_b32 s2, 0xaaaaaaab
	v_mul_hi_u32 v79, v68, s2
	s_mov_b32 s10, 0x370991
	s_mov_b32 s11, 0x3fedd6d0
	v_add_f64 v[73:74], v[66:67], -v[46:47]
	v_lshrrev_b32_e32 v79, 1, v79
	v_add_f64 v[69:70], v[60:61], v[69:70]
	v_lshl_add_u32 v79, v79, 1, v79
	v_add_f64 v[75:76], v[48:49], v[60:61]
	v_sub_u32_e32 v68, v68, v79
	v_mul_f64 v[79:80], v[71:72], s[10:11]
	s_mov_b32 s18, 0x75d4884
	s_mov_b32 s4, 0x2b2883cd
	s_mov_b32 s6, 0x3259b75e
	v_add_f64 v[69:70], v[56:57], v[69:70]
	s_mov_b32 s16, 0xc61f0d01
	s_mov_b32 s22, 0x6ed5f1bb
	;; [unrolled: 1-line block ×7, first 2 shown]
	v_add_f64 v[69:70], v[40:41], v[69:70]
	s_mov_b32 s7, 0x3fb79ee6
	s_mov_b32 s17, 0xbfd183b1
	;; [unrolled: 1-line block ×6, first 2 shown]
	v_mul_f64 v[81:82], v[71:72], s[18:19]
	v_add_f64 v[69:70], v[32:33], v[69:70]
	v_mul_f64 v[83:84], v[71:72], s[4:5]
	v_mul_f64 v[85:86], v[71:72], s[6:7]
	;; [unrolled: 1-line block ×6, first 2 shown]
	v_add_f64 v[77:78], v[62:63], -v[50:51]
	v_add_f64 v[69:70], v[20:21], v[69:70]
	v_mul_f64 v[93:94], v[75:76], s[18:19]
	v_fma_f64 v[105:106], v[73:74], s[26:27], v[79:80]
	s_mov_b32 s28, 0x2a9d6da3
	s_mov_b32 s20, 0x7c9e640b
	s_mov_b32 s14, 0xeb564b22
	s_mov_b32 s50, 0x923c349f
	s_mov_b32 s46, 0x6c9a05f6
	v_add_f64 v[69:70], v[12:13], v[69:70]
	s_mov_b32 s54, 0x4363dd80
	s_mov_b32 s56, 0xacd6c6b4
	s_mov_b32 s37, 0xbfd71e95
	s_mov_b32 s29, 0x3fe58eea
	s_mov_b32 s49, 0xbfe58eea
	s_mov_b32 s21, 0x3feca52d
	s_mov_b32 s53, 0xbfeca52d
	v_add_f64 v[69:70], v[4:5], v[69:70]
	s_mov_b32 s15, 0x3fefdd0d
	s_mov_b32 s45, 0xbfefdd0d
	;; [unrolled: 8-line block ×4, first 2 shown]
	s_mov_b32 s38, s54
	s_mov_b32 s42, s56
	v_mul_f64 v[99:100], v[75:76], s[6:7]
	v_fma_f64 v[79:80], v[73:74], s[36:37], v[79:80]
	v_fma_f64 v[107:108], v[73:74], s[28:29], v[81:82]
	v_add_f64 v[69:70], v[16:17], v[69:70]
	v_fma_f64 v[81:82], v[73:74], s[48:49], v[81:82]
	v_fma_f64 v[109:110], v[73:74], s[20:21], v[83:84]
	;; [unrolled: 1-line block ×7, first 2 shown]
	v_add_f64 v[69:70], v[28:29], v[69:70]
	v_fma_f64 v[115:116], v[73:74], s[46:47], v[89:90]
	v_fma_f64 v[89:90], v[73:74], s[30:31], v[89:90]
	;; [unrolled: 1-line block ×6, first 2 shown]
	v_mul_f64 v[101:102], v[75:76], s[22:23]
	v_add_f64 v[69:70], v[36:37], v[69:70]
	v_fma_f64 v[73:74], v[77:78], s[28:29], v[93:94]
	v_add_f64 v[105:106], v[24:25], v[105:106]
	v_mul_f64 v[103:104], v[75:76], s[40:41]
	v_fma_f64 v[93:94], v[77:78], s[48:49], v[93:94]
	v_fma_f64 v[121:122], v[77:78], s[14:15], v[99:100]
	v_add_f64 v[79:80], v[24:25], v[79:80]
	v_add_f64 v[107:108], v[24:25], v[107:108]
	;; [unrolled: 1-line block ×19, first 2 shown]
	v_fma_f64 v[69:70], v[77:78], s[44:45], v[99:100]
	v_mul_f64 v[99:100], v[75:76], s[34:35]
	v_fma_f64 v[105:106], v[77:78], s[46:47], v[101:102]
	v_fma_f64 v[101:102], v[77:78], s[30:31], v[101:102]
	v_add_f64 v[79:80], v[93:94], v[79:80]
	v_add_f64 v[93:94], v[121:122], v[107:108]
	v_fma_f64 v[107:108], v[77:78], s[56:57], v[103:104]
	v_mul_u32_u24_e32 v68, 0x484, v68
	v_add_f64 v[69:70], v[69:70], v[81:82]
	v_fma_f64 v[81:82], v[77:78], s[42:43], v[103:104]
	v_fma_f64 v[103:104], v[77:78], s[38:39], v[99:100]
	v_add_f64 v[83:84], v[101:102], v[83:84]
	v_mul_f64 v[101:102], v[75:76], s[16:17]
	v_fma_f64 v[99:100], v[77:78], s[54:55], v[99:100]
	v_add_f64 v[105:106], v[105:106], v[109:110]
	v_mul_f64 v[109:110], v[75:76], s[4:5]
	v_mul_f64 v[75:76], v[75:76], s[10:11]
	v_add_f64 v[81:82], v[81:82], v[85:86]
	v_add_f64 v[85:86], v[103:104], v[113:114]
	;; [unrolled: 1-line block ×5, first 2 shown]
	v_fma_f64 v[99:100], v[77:78], s[50:51], v[101:102]
	v_fma_f64 v[111:112], v[77:78], s[24:25], v[101:102]
	;; [unrolled: 1-line block ×3, first 2 shown]
	v_add_f64 v[113:114], v[58:59], -v[54:55]
	v_fma_f64 v[109:110], v[77:78], s[20:21], v[109:110]
	v_mul_f64 v[121:122], v[103:104], s[4:5]
	v_fma_f64 v[123:124], v[77:78], s[36:37], v[75:76]
	v_fma_f64 v[75:76], v[77:78], s[26:27], v[75:76]
	v_add_f64 v[77:78], v[99:100], v[89:90]
	v_mul_f64 v[89:90], v[103:104], s[22:23]
	v_add_f64 v[111:112], v[111:112], v[115:116]
	v_add_f64 v[99:100], v[101:102], v[117:118]
	v_mul_f64 v[115:116], v[103:104], s[40:41]
	v_fma_f64 v[101:102], v[113:114], s[20:21], v[121:122]
	v_add_f64 v[91:92], v[109:110], v[91:92]
	v_add_f64 v[109:110], v[123:124], v[119:120]
	;; [unrolled: 1-line block ×3, first 2 shown]
	v_fma_f64 v[75:76], v[113:114], s[52:53], v[121:122]
	v_fma_f64 v[117:118], v[113:114], s[46:47], v[89:90]
	v_mul_f64 v[119:120], v[103:104], s[16:17]
	v_fma_f64 v[89:90], v[113:114], s[30:31], v[89:90]
	v_add_f64 v[73:74], v[101:102], v[73:74]
	v_mul_f64 v[101:102], v[103:104], s[18:19]
	v_fma_f64 v[121:122], v[113:114], s[42:43], v[115:116]
	v_fma_f64 v[115:116], v[113:114], s[56:57], v[115:116]
	v_add_f64 v[75:76], v[75:76], v[79:80]
	v_add_f64 v[79:80], v[117:118], v[93:94]
	v_fma_f64 v[93:94], v[113:114], s[24:25], v[119:120]
	v_add_f64 v[69:70], v[89:90], v[69:70]
	v_fma_f64 v[89:90], v[113:114], s[50:51], v[119:120]
	v_fma_f64 v[117:118], v[113:114], s[48:49], v[101:102]
	;; [unrolled: 1-line block ×3, first 2 shown]
	v_add_f64 v[83:84], v[115:116], v[83:84]
	v_mul_f64 v[115:116], v[103:104], s[10:11]
	v_add_f64 v[105:106], v[121:122], v[105:106]
	v_add_f64 v[93:94], v[93:94], v[107:108]
	v_mul_f64 v[107:108], v[103:104], s[6:7]
	v_add_f64 v[81:82], v[89:90], v[81:82]
	;; [unrolled: 3-line block ×3, first 2 shown]
	v_fma_f64 v[101:102], v[113:114], s[36:37], v[115:116]
	v_add_f64 v[85:86], v[117:118], v[85:86]
	v_fma_f64 v[117:118], v[113:114], s[26:27], v[115:116]
	v_fma_f64 v[115:116], v[113:114], s[14:15], v[107:108]
	;; [unrolled: 1-line block ×3, first 2 shown]
	v_add_f64 v[119:120], v[42:43], -v[38:39]
	v_mul_f64 v[121:122], v[89:90], s[6:7]
	v_fma_f64 v[123:124], v[113:114], s[54:55], v[103:104]
	v_fma_f64 v[103:104], v[113:114], s[38:39], v[103:104]
	v_add_f64 v[77:78], v[101:102], v[77:78]
	v_mul_f64 v[101:102], v[89:90], s[40:41]
	v_mul_f64 v[113:114], v[89:90], s[16:17]
	v_add_f64 v[91:92], v[107:108], v[91:92]
	v_add_f64 v[111:112], v[117:118], v[111:112]
	v_fma_f64 v[107:108], v[119:120], s[14:15], v[121:122]
	v_add_f64 v[99:100], v[115:116], v[99:100]
	v_add_f64 v[71:72], v[103:104], v[71:72]
	v_fma_f64 v[103:104], v[119:120], s[44:45], v[121:122]
	v_fma_f64 v[115:116], v[119:120], s[56:57], v[101:102]
	v_mul_f64 v[117:118], v[89:90], s[10:11]
	v_fma_f64 v[101:102], v[119:120], s[42:43], v[101:102]
	v_fma_f64 v[121:122], v[119:120], s[24:25], v[113:114]
	v_add_f64 v[73:74], v[107:108], v[73:74]
	v_mul_f64 v[107:108], v[89:90], s[4:5]
	v_fma_f64 v[113:114], v[119:120], s[50:51], v[113:114]
	v_add_f64 v[75:76], v[103:104], v[75:76]
	v_add_f64 v[79:80], v[115:116], v[79:80]
	v_fma_f64 v[103:104], v[119:120], s[36:37], v[117:118]
	v_add_f64 v[69:70], v[101:102], v[69:70]
	v_fma_f64 v[101:102], v[119:120], s[26:27], v[117:118]
	;; [unrolled: 2-line block ×3, first 2 shown]
	v_add_f64 v[83:84], v[113:114], v[83:84]
	v_mul_f64 v[113:114], v[89:90], s[34:35]
	v_fma_f64 v[107:108], v[119:120], s[52:53], v[107:108]
	v_add_f64 v[93:94], v[103:104], v[93:94]
	v_mul_f64 v[103:104], v[89:90], s[22:23]
	v_add_f64 v[81:82], v[101:102], v[81:82]
	v_add_f64 v[101:102], v[28:29], v[32:33]
	v_mul_f64 v[89:90], v[89:90], s[18:19]
	v_add_f64 v[85:86], v[115:116], v[85:86]
	v_fma_f64 v[115:116], v[119:120], s[54:55], v[113:114]
	v_add_f64 v[87:88], v[107:108], v[87:88]
	v_fma_f64 v[107:108], v[119:120], s[38:39], v[113:114]
	v_fma_f64 v[113:114], v[119:120], s[30:31], v[103:104]
	;; [unrolled: 1-line block ×3, first 2 shown]
	v_add_f64 v[117:118], v[34:35], -v[30:31]
	v_mul_f64 v[121:122], v[101:102], s[16:17]
	v_add_f64 v[109:110], v[123:124], v[109:110]
	v_fma_f64 v[123:124], v[119:120], s[48:49], v[89:90]
	v_fma_f64 v[89:90], v[119:120], s[28:29], v[89:90]
	v_add_f64 v[77:78], v[107:108], v[77:78]
	v_mul_f64 v[107:108], v[101:102], s[34:35]
	v_add_f64 v[99:100], v[113:114], v[99:100]
	v_add_f64 v[91:92], v[103:104], v[91:92]
	v_fma_f64 v[103:104], v[117:118], s[50:51], v[121:122]
	v_mul_f64 v[113:114], v[101:102], s[18:19]
	v_add_f64 v[111:112], v[115:116], v[111:112]
	v_add_f64 v[71:72], v[89:90], v[71:72]
	v_fma_f64 v[89:90], v[117:118], s[24:25], v[121:122]
	v_fma_f64 v[115:116], v[117:118], s[38:39], v[107:108]
	v_mul_f64 v[119:120], v[101:102], s[4:5]
	v_fma_f64 v[107:108], v[117:118], s[54:55], v[107:108]
	v_add_f64 v[73:74], v[103:104], v[73:74]
	v_mul_f64 v[103:104], v[101:102], s[40:41]
	v_fma_f64 v[121:122], v[117:118], s[48:49], v[113:114]
	v_fma_f64 v[113:114], v[117:118], s[28:29], v[113:114]
	v_add_f64 v[75:76], v[89:90], v[75:76]
	v_add_f64 v[79:80], v[115:116], v[79:80]
	v_fma_f64 v[89:90], v[117:118], s[20:21], v[119:120]
	v_add_f64 v[69:70], v[107:108], v[69:70]
	v_fma_f64 v[107:108], v[117:118], s[52:53], v[119:120]
	v_fma_f64 v[115:116], v[117:118], s[56:57], v[103:104]
	;; [unrolled: 1-line block ×3, first 2 shown]
	v_add_f64 v[83:84], v[113:114], v[83:84]
	v_mul_f64 v[113:114], v[101:102], s[6:7]
	v_add_f64 v[109:110], v[123:124], v[109:110]
	v_add_f64 v[89:90], v[89:90], v[93:94]
	v_mul_f64 v[93:94], v[101:102], s[10:11]
	v_add_f64 v[81:82], v[107:108], v[81:82]
	;; [unrolled: 3-line block ×3, first 2 shown]
	v_fma_f64 v[103:104], v[117:118], s[14:15], v[113:114]
	v_add_f64 v[105:106], v[121:122], v[105:106]
	v_add_f64 v[85:86], v[115:116], v[85:86]
	v_fma_f64 v[115:116], v[117:118], s[44:45], v[113:114]
	v_fma_f64 v[113:114], v[117:118], s[26:27], v[93:94]
	;; [unrolled: 1-line block ×3, first 2 shown]
	v_add_f64 v[119:120], v[22:23], -v[18:19]
	v_mul_f64 v[121:122], v[107:108], s[22:23]
	v_fma_f64 v[123:124], v[117:118], s[46:47], v[101:102]
	v_fma_f64 v[101:102], v[117:118], s[30:31], v[101:102]
	v_add_f64 v[77:78], v[103:104], v[77:78]
	v_mul_f64 v[103:104], v[107:108], s[16:17]
	v_add_f64 v[111:112], v[115:116], v[111:112]
	v_add_f64 v[91:92], v[93:94], v[91:92]
	v_mul_f64 v[115:116], v[107:108], s[34:35]
	v_fma_f64 v[93:94], v[119:120], s[46:47], v[121:122]
	v_add_f64 v[99:100], v[113:114], v[99:100]
	v_add_f64 v[71:72], v[101:102], v[71:72]
	v_fma_f64 v[101:102], v[119:120], s[30:31], v[121:122]
	v_mul_f64 v[113:114], v[107:108], s[10:11]
	v_fma_f64 v[117:118], v[119:120], s[24:25], v[103:104]
	v_fma_f64 v[103:104], v[119:120], s[50:51], v[103:104]
	v_add_f64 v[109:110], v[123:124], v[109:110]
	v_add_f64 v[73:74], v[93:94], v[73:74]
	v_mul_f64 v[93:94], v[107:108], s[6:7]
	s_movk_i32 s2, 0x88
	v_add_f64 v[75:76], v[101:102], v[75:76]
	v_fma_f64 v[101:102], v[119:120], s[54:55], v[115:116]
	v_fma_f64 v[121:122], v[119:120], s[26:27], v[113:114]
	;; [unrolled: 1-line block ×3, first 2 shown]
	v_add_f64 v[69:70], v[103:104], v[69:70]
	v_fma_f64 v[103:104], v[119:120], s[38:39], v[115:116]
	v_fma_f64 v[115:116], v[119:120], s[44:45], v[93:94]
	;; [unrolled: 1-line block ×3, first 2 shown]
	v_add_f64 v[79:80], v[117:118], v[79:80]
	v_add_f64 v[89:90], v[101:102], v[89:90]
	v_mul_f64 v[101:102], v[107:108], s[40:41]
	v_add_f64 v[83:84], v[113:114], v[83:84]
	v_mul_f64 v[113:114], v[107:108], s[18:19]
	v_add_f64 v[81:82], v[103:104], v[81:82]
	v_add_f64 v[103:104], v[8:9], v[12:13]
	v_mul_f64 v[107:108], v[107:108], s[4:5]
	v_add_f64 v[87:88], v[93:94], v[87:88]
	v_add_f64 v[105:106], v[121:122], v[105:106]
	v_fma_f64 v[93:94], v[119:120], s[56:57], v[101:102]
	v_add_f64 v[85:86], v[115:116], v[85:86]
	v_fma_f64 v[115:116], v[119:120], s[28:29], v[113:114]
	v_fma_f64 v[113:114], v[119:120], s[48:49], v[113:114]
	;; [unrolled: 1-line block ×3, first 2 shown]
	v_add_f64 v[117:118], v[14:15], -v[10:11]
	v_mul_f64 v[121:122], v[103:104], s[34:35]
	v_fma_f64 v[123:124], v[119:120], s[52:53], v[107:108]
	v_fma_f64 v[107:108], v[119:120], s[20:21], v[107:108]
	v_add_f64 v[93:94], v[93:94], v[99:100]
	v_mul_f64 v[99:100], v[103:104], s[4:5]
	v_add_f64 v[77:78], v[113:114], v[77:78]
	v_add_f64 v[91:92], v[101:102], v[91:92]
	v_mul_f64 v[113:114], v[103:104], s[6:7]
	v_fma_f64 v[101:102], v[117:118], s[54:55], v[121:122]
	v_add_f64 v[111:112], v[115:116], v[111:112]
	v_add_f64 v[71:72], v[107:108], v[71:72]
	v_mul_f64 v[107:108], v[103:104], s[22:23]
	v_fma_f64 v[119:120], v[117:118], s[52:53], v[99:100]
	v_fma_f64 v[99:100], v[117:118], s[20:21], v[99:100]
	;; [unrolled: 1-line block ×4, first 2 shown]
	v_add_f64 v[73:74], v[101:102], v[73:74]
	v_mul_f64 v[101:102], v[103:104], s[10:11]
	v_fma_f64 v[113:114], v[117:118], s[44:45], v[113:114]
	v_add_f64 v[109:110], v[123:124], v[109:110]
	v_add_f64 v[79:80], v[119:120], v[79:80]
	;; [unrolled: 1-line block ×3, first 2 shown]
	v_fma_f64 v[99:100], v[117:118], s[46:47], v[107:108]
	v_add_f64 v[75:76], v[115:116], v[75:76]
	v_fma_f64 v[115:116], v[117:118], s[30:31], v[107:108]
	v_fma_f64 v[107:108], v[117:118], s[26:27], v[101:102]
	v_add_f64 v[119:120], v[121:122], v[105:106]
	v_mul_f64 v[105:106], v[103:104], s[40:41]
	v_add_f64 v[83:84], v[113:114], v[83:84]
	v_fma_f64 v[101:102], v[117:118], s[36:37], v[101:102]
	v_mul_f64 v[113:114], v[103:104], s[18:19]
	v_add_f64 v[81:82], v[99:100], v[81:82]
	v_add_f64 v[99:100], v[0:1], v[4:5]
	;; [unrolled: 1-line block ×4, first 2 shown]
	v_fma_f64 v[107:108], v[117:118], s[56:57], v[105:106]
	v_fma_f64 v[105:106], v[117:118], s[42:43], v[105:106]
	v_mul_f64 v[103:104], v[103:104], s[16:17]
	v_add_f64 v[87:88], v[101:102], v[87:88]
	v_fma_f64 v[101:102], v[117:118], s[48:49], v[113:114]
	v_fma_f64 v[113:114], v[117:118], s[28:29], v[113:114]
	v_add_f64 v[115:116], v[6:7], -v[2:3]
	v_mul_f64 v[121:122], v[99:100], s[40:41]
	v_add_f64 v[107:108], v[107:108], v[111:112]
	v_mul_f64 v[111:112], v[99:100], s[10:11]
	v_add_f64 v[77:78], v[105:106], v[77:78]
	v_fma_f64 v[105:106], v[117:118], s[50:51], v[103:104]
	v_add_f64 v[93:94], v[101:102], v[93:94]
	v_add_f64 v[91:92], v[113:114], v[91:92]
	v_fma_f64 v[101:102], v[117:118], s[24:25], v[103:104]
	v_fma_f64 v[103:104], v[115:116], s[56:57], v[121:122]
	v_mul_f64 v[113:114], v[99:100], s[34:35]
	v_fma_f64 v[117:118], v[115:116], s[42:43], v[121:122]
	v_fma_f64 v[121:122], v[115:116], s[36:37], v[111:112]
	v_mul_f64 v[123:124], v[99:100], s[18:19]
	v_fma_f64 v[111:112], v[115:116], s[26:27], v[111:112]
	v_add_f64 v[109:110], v[105:106], v[109:110]
	v_add_f64 v[71:72], v[101:102], v[71:72]
	;; [unrolled: 1-line block ×3, first 2 shown]
	v_fma_f64 v[101:102], v[115:116], s[54:55], v[113:114]
	v_add_f64 v[104:105], v[117:118], v[75:76]
	v_fma_f64 v[75:76], v[115:116], s[38:39], v[113:114]
	v_mul_f64 v[117:118], v[99:100], s[22:23]
	v_add_f64 v[69:70], v[111:112], v[69:70]
	v_fma_f64 v[111:112], v[115:116], s[28:29], v[123:124]
	v_fma_f64 v[113:114], v[115:116], s[48:49], v[123:124]
	v_add_f64 v[79:80], v[121:122], v[79:80]
	v_add_f64 v[101:102], v[101:102], v[119:120]
	v_mul_f64 v[119:120], v[99:100], s[4:5]
	v_add_f64 v[75:76], v[75:76], v[83:84]
	v_mul_f64 v[83:84], v[99:100], s[16:17]
	v_mul_f64 v[99:100], v[99:100], s[6:7]
	v_add_f64 v[81:82], v[111:112], v[81:82]
	v_fma_f64 v[111:112], v[115:116], s[46:47], v[117:118]
	v_add_f64 v[89:90], v[113:114], v[89:90]
	v_fma_f64 v[113:114], v[115:116], s[30:31], v[117:118]
	v_fma_f64 v[117:118], v[115:116], s[52:53], v[119:120]
	;; [unrolled: 1-line block ×7, first 2 shown]
	v_add_f64 v[85:86], v[111:112], v[85:86]
	v_add_f64 v[87:88], v[113:114], v[87:88]
	;; [unrolled: 1-line block ×8, first 2 shown]
	v_lshlrev_b32_e32 v121, 3, v68
	v_add_u32_e32 v68, 0, v121
	v_mad_u32_u24 v100, v98, s2, v68
	ds_write2_b64 v100, v[24:25], v[73:74] offset1:1
	ds_write2_b64 v100, v[79:80], v[101:102] offset0:2 offset1:3
	ds_write2_b64 v100, v[89:90], v[85:86] offset0:4 offset1:5
	;; [unrolled: 1-line block ×7, first 2 shown]
	ds_write_b64 v100, v[104:105] offset:128
	v_lshlrev_b32_e32 v24, 3, v98
	v_add3_u32 v99, 0, v24, v121
	v_add_u32_e32 v120, v68, v24
	v_add_u32_e32 v24, 0xc00, v99
	;; [unrolled: 1-line block ×6, first 2 shown]
	s_waitcnt lgkmcnt(0)
	s_barrier
	ds_read2_b64 v[68:71], v24 offset0:92 offset1:194
	ds_read2_b64 v[84:87], v99 offset0:68 offset1:136
	ds_read2_b64 v[72:75], v25 offset0:134 offset1:202
	ds_read2_b64 v[88:91], v101 offset0:76 offset1:144
	ds_read2_b64 v[80:83], v102 offset0:14 offset1:82
	ds_read2_b64 v[92:95], v103 offset0:84 offset1:152
	ds_read2_b64 v[76:79], v102 offset0:150 offset1:218
	ds_read_b64 v[110:111], v120
	ds_read_b64 v[106:107], v99 offset:8432
	v_cmp_gt_u32_e64 s[2:3], 34, v98
                                        ; implicit-def: $vgpr108_vgpr109
	s_and_saveexec_b64 s[58:59], s[2:3]
	s_cbranch_execz .LBB0_12
; %bb.11:
	ds_read_b64 v[104:105], v99 offset:4352
	ds_read_b64 v[108:109], v99 offset:8976
.LBB0_12:
	s_or_b64 exec, exec, s[58:59]
	v_add_f64 v[112:113], v[66:67], v[26:27]
	v_add_f64 v[52:53], v[56:57], -v[52:53]
	v_add_f64 v[44:45], v[64:65], -v[44:45]
	v_add_f64 v[64:65], v[46:47], v[66:67]
	v_add_f64 v[66:67], v[50:51], v[62:63]
	v_add_f64 v[48:49], v[60:61], -v[48:49]
	v_add_f64 v[60:61], v[54:55], v[58:59]
	v_add_f64 v[36:37], v[40:41], -v[36:37]
	v_add_f64 v[56:57], v[62:63], v[112:113]
	v_mul_f64 v[138:139], v[52:53], s[52:53]
	v_mul_f64 v[62:63], v[44:45], s[36:37]
	;; [unrolled: 1-line block ×7, first 2 shown]
	v_add_f64 v[56:57], v[58:59], v[56:57]
	v_mul_f64 v[124:125], v[44:45], s[38:39]
	v_mul_f64 v[44:45], v[44:45], s[42:43]
	v_fma_f64 v[148:149], v[64:65], s[10:11], v[62:63]
	v_fma_f64 v[62:63], v[64:65], s[10:11], -v[62:63]
	v_fma_f64 v[150:151], v[64:65], s[18:19], v[112:113]
	v_fma_f64 v[112:113], v[64:65], s[18:19], -v[112:113]
	v_fma_f64 v[152:153], v[64:65], s[4:5], v[114:115]
	v_add_f64 v[56:57], v[42:43], v[56:57]
	v_fma_f64 v[114:115], v[64:65], s[4:5], -v[114:115]
	v_fma_f64 v[154:155], v[64:65], s[6:7], v[116:117]
	v_fma_f64 v[116:117], v[64:65], s[6:7], -v[116:117]
	v_fma_f64 v[156:157], v[64:65], s[16:17], v[118:119]
	v_fma_f64 v[118:119], v[64:65], s[16:17], -v[118:119]
	v_fma_f64 v[158:159], v[64:65], s[22:23], v[122:123]
	v_fma_f64 v[122:123], v[64:65], s[22:23], -v[122:123]
	v_add_f64 v[56:57], v[34:35], v[56:57]
	v_fma_f64 v[160:161], v[64:65], s[34:35], v[124:125]
	v_fma_f64 v[124:125], v[64:65], s[34:35], -v[124:125]
	v_fma_f64 v[162:163], v[64:65], s[40:41], v[44:45]
	v_fma_f64 v[44:45], v[64:65], s[40:41], -v[44:45]
	v_mul_f64 v[58:59], v[48:49], s[48:49]
	v_mul_f64 v[126:127], v[48:49], s[44:45]
	;; [unrolled: 1-line block ×3, first 2 shown]
	v_add_f64 v[56:57], v[22:23], v[56:57]
	v_mul_f64 v[130:131], v[48:49], s[42:43]
	v_add_f64 v[148:149], v[26:27], v[148:149]
	v_add_f64 v[62:63], v[26:27], v[62:63]
	;; [unrolled: 1-line block ×18, first 2 shown]
	v_mul_f64 v[132:133], v[48:49], s[54:55]
	v_mul_f64 v[134:135], v[48:49], s[50:51]
	;; [unrolled: 1-line block ×4, first 2 shown]
	v_add_f64 v[56:57], v[2:3], v[56:57]
	v_mul_f64 v[140:141], v[52:53], s[30:31]
	v_mul_f64 v[142:143], v[52:53], s[56:57]
	;; [unrolled: 1-line block ×3, first 2 shown]
	v_fma_f64 v[64:65], v[66:67], s[18:19], v[58:59]
	v_fma_f64 v[58:59], v[66:67], s[18:19], -v[58:59]
	v_fma_f64 v[164:165], v[66:67], s[6:7], v[126:127]
	v_fma_f64 v[126:127], v[66:67], s[6:7], -v[126:127]
	v_add_f64 v[56:57], v[10:11], v[56:57]
	v_fma_f64 v[166:167], v[66:67], s[22:23], v[128:129]
	v_fma_f64 v[128:129], v[66:67], s[22:23], -v[128:129]
	v_fma_f64 v[168:169], v[66:67], s[40:41], v[130:131]
	v_mul_f64 v[146:147], v[52:53], s[28:29]
	v_fma_f64 v[130:131], v[66:67], s[40:41], -v[130:131]
	v_fma_f64 v[170:171], v[66:67], s[34:35], v[132:133]
	v_fma_f64 v[132:133], v[66:67], s[34:35], -v[132:133]
	v_add_f64 v[56:57], v[18:19], v[56:57]
	v_fma_f64 v[172:173], v[66:67], s[16:17], v[134:135]
	v_fma_f64 v[134:135], v[66:67], s[16:17], -v[134:135]
	v_fma_f64 v[174:175], v[66:67], s[4:5], v[136:137]
	v_fma_f64 v[136:137], v[66:67], s[4:5], -v[136:137]
	;; [unrolled: 2-line block ×3, first 2 shown]
	v_fma_f64 v[66:67], v[60:61], s[4:5], v[138:139]
	v_add_f64 v[56:57], v[30:31], v[56:57]
	v_fma_f64 v[138:139], v[60:61], s[4:5], -v[138:139]
	v_fma_f64 v[178:179], v[60:61], s[22:23], v[140:141]
	v_fma_f64 v[140:141], v[60:61], s[22:23], -v[140:141]
	v_fma_f64 v[180:181], v[60:61], s[40:41], v[142:143]
	;; [unrolled: 2-line block ×3, first 2 shown]
	v_add_f64 v[58:59], v[58:59], v[62:63]
	v_add_f64 v[44:45], v[38:39], v[56:57]
	;; [unrolled: 1-line block ×16, first 2 shown]
	v_mul_f64 v[66:67], v[52:53], s[36:37]
	v_add_f64 v[44:45], v[50:51], v[44:45]
	v_fma_f64 v[112:113], v[60:61], s[18:19], -v[146:147]
	v_mul_f64 v[40:41], v[52:53], s[38:39]
	v_add_f64 v[128:129], v[172:173], v[158:159]
	v_add_f64 v[122:123], v[134:135], v[122:123]
	;; [unrolled: 1-line block ×4, first 2 shown]
	v_mul_f64 v[42:43], v[36:37], s[44:45]
	v_add_f64 v[44:45], v[46:47], v[44:45]
	v_add_f64 v[46:47], v[142:143], v[114:115]
	;; [unrolled: 1-line block ×3, first 2 shown]
	v_mul_f64 v[126:127], v[52:53], s[44:45]
	v_fma_f64 v[52:53], v[60:61], s[10:11], v[66:67]
	v_add_f64 v[112:113], v[112:113], v[118:119]
	v_fma_f64 v[66:67], v[60:61], s[10:11], -v[66:67]
	v_fma_f64 v[132:133], v[60:61], s[34:35], v[40:41]
	v_fma_f64 v[40:41], v[60:61], s[34:35], -v[40:41]
	v_fma_f64 v[144:145], v[60:61], s[16:17], -v[144:145]
	v_fma_f64 v[184:185], v[60:61], s[18:19], v[146:147]
	v_fma_f64 v[118:119], v[60:61], s[6:7], v[126:127]
	v_fma_f64 v[126:127], v[60:61], s[6:7], -v[126:127]
	v_add_f64 v[54:55], v[130:131], v[116:117]
	v_add_f64 v[130:131], v[174:175], v[160:161]
	;; [unrolled: 1-line block ×4, first 2 shown]
	v_mul_f64 v[66:67], v[36:37], s[42:43]
	v_add_f64 v[26:27], v[40:41], v[26:27]
	v_fma_f64 v[40:41], v[38:39], s[6:7], -v[42:43]
	v_add_f64 v[122:123], v[126:127], v[124:125]
	v_fma_f64 v[124:125], v[38:39], s[6:7], v[42:43]
	v_mul_f64 v[126:127], v[36:37], s[50:51]
	v_mul_f64 v[128:129], v[36:37], s[26:27]
	v_add_f64 v[116:117], v[170:171], v[156:157]
	v_add_f64 v[118:119], v[118:119], v[130:131]
	v_fma_f64 v[42:43], v[38:39], s[40:41], v[66:67]
	v_fma_f64 v[66:67], v[38:39], s[40:41], -v[66:67]
	v_add_f64 v[40:41], v[40:41], v[56:57]
	v_add_f64 v[48:49], v[124:125], v[48:49]
	v_mul_f64 v[124:125], v[36:37], s[52:53]
	v_fma_f64 v[130:131], v[38:39], s[16:17], v[126:127]
	v_fma_f64 v[126:127], v[38:39], s[16:17], -v[126:127]
	v_fma_f64 v[56:57], v[38:39], s[10:11], v[128:129]
	v_add_f64 v[54:55], v[144:145], v[54:55]
	v_add_f64 v[116:117], v[184:185], v[116:117]
	;; [unrolled: 1-line block ×4, first 2 shown]
	v_fma_f64 v[62:63], v[38:39], s[10:11], -v[128:129]
	v_fma_f64 v[66:67], v[38:39], s[4:5], v[124:125]
	v_add_f64 v[46:47], v[126:127], v[46:47]
	v_mul_f64 v[126:127], v[36:37], s[38:39]
	v_fma_f64 v[124:125], v[38:39], s[4:5], -v[124:125]
	v_add_f64 v[56:57], v[56:57], v[114:115]
	v_mul_f64 v[114:115], v[36:37], s[46:47]
	v_add_f64 v[28:29], v[32:33], -v[28:29]
	v_mul_f64 v[32:33], v[36:37], s[28:29]
	v_add_f64 v[54:55], v[62:63], v[54:55]
	v_add_f64 v[62:63], v[66:67], v[116:117]
	v_fma_f64 v[36:37], v[38:39], s[34:35], v[126:127]
	v_add_f64 v[66:67], v[124:125], v[112:113]
	v_fma_f64 v[112:113], v[38:39], s[34:35], -v[126:127]
	v_fma_f64 v[116:117], v[38:39], s[22:23], v[114:115]
	v_fma_f64 v[114:115], v[38:39], s[22:23], -v[114:115]
	v_add_f64 v[30:31], v[30:31], v[34:35]
	v_mul_f64 v[34:35], v[28:29], s[24:25]
	v_fma_f64 v[124:125], v[38:39], s[18:19], v[32:33]
	v_fma_f64 v[32:33], v[38:39], s[18:19], -v[32:33]
	v_add_f64 v[36:37], v[36:37], v[52:53]
	v_add_f64 v[38:39], v[112:113], v[60:61]
	v_mul_f64 v[52:53], v[28:29], s[54:55]
	v_add_f64 v[60:61], v[116:117], v[118:119]
	v_add_f64 v[112:113], v[114:115], v[122:123]
	v_fma_f64 v[114:115], v[30:31], s[16:17], v[34:35]
	v_mul_f64 v[116:117], v[28:29], s[28:29]
	v_add_f64 v[26:27], v[32:33], v[26:27]
	v_fma_f64 v[32:33], v[30:31], s[16:17], -v[34:35]
	v_mul_f64 v[118:119], v[28:29], s[52:53]
	v_fma_f64 v[34:35], v[30:31], s[34:35], v[52:53]
	v_fma_f64 v[52:53], v[30:31], s[34:35], -v[52:53]
	v_add_f64 v[16:17], v[20:21], -v[16:17]
	v_add_f64 v[48:49], v[114:115], v[48:49]
	v_mul_f64 v[114:115], v[28:29], s[42:43]
	v_fma_f64 v[122:123], v[30:31], s[18:19], v[116:117]
	v_fma_f64 v[116:117], v[30:31], s[18:19], -v[116:117]
	v_add_f64 v[32:33], v[32:33], v[40:41]
	v_fma_f64 v[40:41], v[30:31], s[4:5], v[118:119]
	v_add_f64 v[34:35], v[34:35], v[42:43]
	v_add_f64 v[42:43], v[52:53], v[58:59]
	v_fma_f64 v[52:53], v[30:31], s[4:5], -v[118:119]
	v_fma_f64 v[58:59], v[30:31], s[40:41], v[114:115]
	v_fma_f64 v[114:115], v[30:31], s[40:41], -v[114:115]
	v_add_f64 v[46:47], v[116:117], v[46:47]
	v_mul_f64 v[116:117], v[28:29], s[14:15]
	v_add_f64 v[40:41], v[40:41], v[56:57]
	v_mul_f64 v[56:57], v[28:29], s[36:37]
	v_mul_f64 v[20:21], v[28:29], s[30:31]
	v_add_f64 v[52:53], v[52:53], v[54:55]
	v_add_f64 v[54:55], v[58:59], v[62:63]
	;; [unrolled: 1-line block ×4, first 2 shown]
	v_fma_f64 v[28:29], v[30:31], s[6:7], v[116:117]
	v_fma_f64 v[62:63], v[30:31], s[6:7], -v[116:117]
	v_fma_f64 v[66:67], v[30:31], s[10:11], v[56:57]
	v_mul_f64 v[22:23], v[16:17], s[30:31]
	v_fma_f64 v[114:115], v[30:31], s[22:23], v[20:21]
	v_fma_f64 v[20:21], v[30:31], s[22:23], -v[20:21]
	v_fma_f64 v[56:57], v[30:31], s[10:11], -v[56:57]
	v_add_f64 v[8:9], v[12:13], -v[8:9]
	v_add_f64 v[28:29], v[28:29], v[36:37]
	v_add_f64 v[30:31], v[62:63], v[38:39]
	v_add_f64 v[36:37], v[66:67], v[60:61]
	v_mul_f64 v[38:39], v[16:17], s[50:51]
	v_fma_f64 v[60:61], v[18:19], s[22:23], v[22:23]
	v_mul_f64 v[62:63], v[16:17], s[36:37]
	v_add_f64 v[20:21], v[20:21], v[26:27]
	v_fma_f64 v[22:23], v[18:19], s[22:23], -v[22:23]
	v_mul_f64 v[26:27], v[16:17], s[38:39]
	v_add_f64 v[56:57], v[56:57], v[112:113]
	v_add_f64 v[64:65], v[130:131], v[64:65]
	v_fma_f64 v[66:67], v[18:19], s[16:17], v[38:39]
	v_fma_f64 v[38:39], v[18:19], s[16:17], -v[38:39]
	v_add_f64 v[48:49], v[60:61], v[48:49]
	v_mul_f64 v[60:61], v[16:17], s[14:15]
	v_fma_f64 v[112:113], v[18:19], s[10:11], v[62:63]
	v_fma_f64 v[62:63], v[18:19], s[10:11], -v[62:63]
	v_add_f64 v[22:23], v[22:23], v[32:33]
	v_fma_f64 v[32:33], v[18:19], s[34:35], v[26:27]
	v_fma_f64 v[26:27], v[18:19], s[34:35], -v[26:27]
	v_add_f64 v[38:39], v[38:39], v[42:43]
	v_mul_f64 v[12:13], v[16:17], s[20:21]
	v_fma_f64 v[42:43], v[18:19], s[6:7], v[60:61]
	v_add_f64 v[10:11], v[10:11], v[14:15]
	v_add_f64 v[46:47], v[62:63], v[46:47]
	v_mul_f64 v[62:63], v[16:17], s[48:49]
	v_add_f64 v[32:33], v[32:33], v[40:41]
	v_fma_f64 v[40:41], v[18:19], s[6:7], -v[60:61]
	v_mul_f64 v[60:61], v[16:17], s[42:43]
	v_add_f64 v[26:27], v[26:27], v[52:53]
	v_add_f64 v[42:43], v[42:43], v[54:55]
	v_mul_f64 v[14:15], v[8:9], s[38:39]
	v_add_f64 v[50:51], v[176:177], v[162:163]
	v_fma_f64 v[16:17], v[18:19], s[18:19], v[62:63]
	v_fma_f64 v[52:53], v[18:19], s[18:19], -v[62:63]
	v_add_f64 v[64:65], v[122:123], v[64:65]
	v_fma_f64 v[54:55], v[18:19], s[40:41], v[60:61]
	v_add_f64 v[40:41], v[40:41], v[58:59]
	v_fma_f64 v[58:59], v[18:19], s[40:41], -v[60:61]
	v_fma_f64 v[60:61], v[18:19], s[4:5], v[12:13]
	v_fma_f64 v[12:13], v[18:19], s[4:5], -v[12:13]
	v_add_f64 v[16:17], v[16:17], v[28:29]
	v_add_f64 v[28:29], v[52:53], v[30:31]
	v_mul_f64 v[30:31], v[8:9], s[20:21]
	v_add_f64 v[18:19], v[54:55], v[36:37]
	v_fma_f64 v[52:53], v[10:11], s[34:35], v[14:15]
	v_mul_f64 v[54:55], v[8:9], s[44:45]
	v_fma_f64 v[14:15], v[10:11], s[34:35], -v[14:15]
	v_add_f64 v[50:51], v[132:133], v[50:51]
	v_add_f64 v[34:35], v[66:67], v[34:35]
	;; [unrolled: 1-line block ×5, first 2 shown]
	v_mul_f64 v[20:21], v[8:9], s[46:47]
	v_fma_f64 v[56:57], v[10:11], s[4:5], v[30:31]
	v_fma_f64 v[30:31], v[10:11], s[4:5], -v[30:31]
	v_add_f64 v[48:49], v[52:53], v[48:49]
	v_mul_f64 v[52:53], v[8:9], s[36:37]
	v_fma_f64 v[58:59], v[10:11], s[6:7], v[54:55]
	v_add_f64 v[14:15], v[14:15], v[22:23]
	v_fma_f64 v[22:23], v[10:11], s[6:7], -v[54:55]
	v_add_f64 v[50:51], v[124:125], v[50:51]
	v_fma_f64 v[54:55], v[10:11], s[22:23], v[20:21]
	v_add_f64 v[34:35], v[56:57], v[34:35]
	v_add_f64 v[30:31], v[30:31], v[38:39]
	v_fma_f64 v[20:21], v[10:11], s[22:23], -v[20:21]
	v_fma_f64 v[38:39], v[10:11], s[10:11], v[52:53]
	v_add_f64 v[56:57], v[58:59], v[64:65]
	v_mul_f64 v[58:59], v[8:9], s[42:43]
	v_add_f64 v[22:23], v[22:23], v[46:47]
	v_fma_f64 v[46:47], v[10:11], s[10:11], -v[52:53]
	v_mul_f64 v[52:53], v[8:9], s[28:29]
	v_add_f64 v[0:1], v[4:5], -v[0:1]
	v_add_f64 v[50:51], v[114:115], v[50:51]
	v_add_f64 v[20:21], v[20:21], v[26:27]
	;; [unrolled: 1-line block ×3, first 2 shown]
	v_fma_f64 v[4:5], v[10:11], s[40:41], v[58:59]
	v_fma_f64 v[38:39], v[10:11], s[40:41], -v[58:59]
	v_mul_f64 v[8:9], v[8:9], s[24:25]
	v_fma_f64 v[42:43], v[10:11], s[18:19], v[52:53]
	v_add_f64 v[2:3], v[2:3], v[6:7]
	v_mul_f64 v[6:7], v[0:1], s[42:43]
	v_add_f64 v[50:51], v[60:61], v[50:51]
	v_add_f64 v[40:41], v[46:47], v[40:41]
	v_fma_f64 v[46:47], v[10:11], s[18:19], -v[52:53]
	v_add_f64 v[4:5], v[4:5], v[16:17]
	v_add_f64 v[16:17], v[38:39], v[28:29]
	v_fma_f64 v[28:29], v[10:11], s[16:17], v[8:9]
	v_mul_f64 v[38:39], v[0:1], s[26:27]
	v_add_f64 v[18:19], v[42:43], v[18:19]
	v_fma_f64 v[8:9], v[10:11], s[16:17], -v[8:9]
	v_fma_f64 v[10:11], v[2:3], s[40:41], v[6:7]
	v_mul_f64 v[42:43], v[0:1], s[38:39]
	v_fma_f64 v[6:7], v[2:3], s[40:41], -v[6:7]
	v_add_f64 v[36:37], v[46:47], v[36:37]
	v_add_f64 v[28:29], v[28:29], v[50:51]
	v_fma_f64 v[46:47], v[2:3], s[10:11], v[38:39]
	v_mul_f64 v[50:51], v[0:1], s[28:29]
	v_fma_f64 v[38:39], v[2:3], s[10:11], -v[38:39]
	v_add_f64 v[32:33], v[54:55], v[32:33]
	v_add_f64 v[8:9], v[8:9], v[12:13]
	;; [unrolled: 1-line block ×3, first 2 shown]
	v_fma_f64 v[6:7], v[2:3], s[34:35], -v[42:43]
	v_fma_f64 v[12:13], v[2:3], s[34:35], v[42:43]
	v_add_f64 v[14:15], v[46:47], v[34:35]
	v_fma_f64 v[34:35], v[2:3], s[18:19], v[50:51]
	v_mul_f64 v[42:43], v[0:1], s[30:31]
	v_add_f64 v[30:31], v[38:39], v[30:31]
	v_fma_f64 v[38:39], v[2:3], s[18:19], -v[50:51]
	v_mul_f64 v[46:47], v[0:1], s[20:21]
	v_add_f64 v[6:7], v[6:7], v[22:23]
	v_mul_f64 v[22:23], v[0:1], s[24:25]
	v_mul_f64 v[0:1], v[0:1], s[14:15]
	v_add_f64 v[32:33], v[34:35], v[32:33]
	v_fma_f64 v[34:35], v[2:3], s[22:23], v[42:43]
	v_add_f64 v[10:11], v[10:11], v[48:49]
	v_add_f64 v[20:21], v[38:39], v[20:21]
	v_fma_f64 v[38:39], v[2:3], s[22:23], -v[42:43]
	v_fma_f64 v[42:43], v[2:3], s[4:5], v[46:47]
	v_fma_f64 v[48:49], v[2:3], s[16:17], v[22:23]
	;; [unrolled: 1-line block ×3, first 2 shown]
	v_fma_f64 v[0:1], v[2:3], s[6:7], -v[0:1]
	v_fma_f64 v[46:47], v[2:3], s[4:5], -v[46:47]
	;; [unrolled: 1-line block ×3, first 2 shown]
	v_add_f64 v[12:13], v[12:13], v[56:57]
	v_add_f64 v[2:3], v[34:35], v[26:27]
	v_add_f64 v[4:5], v[42:43], v[4:5]
	v_add_f64 v[18:19], v[48:49], v[18:19]
	v_add_f64 v[28:29], v[50:51], v[28:29]
	v_add_f64 v[0:1], v[0:1], v[8:9]
	v_add_f64 v[16:17], v[46:47], v[16:17]
	v_add_f64 v[22:23], v[22:23], v[36:37]
	v_add_f64 v[26:27], v[38:39], v[40:41]
	s_waitcnt lgkmcnt(0)
	s_barrier
	ds_write2_b64 v100, v[44:45], v[10:11] offset1:1
	ds_write2_b64 v100, v[14:15], v[12:13] offset0:2 offset1:3
	ds_write2_b64 v100, v[32:33], v[2:3] offset0:4 offset1:5
	;; [unrolled: 1-line block ×7, first 2 shown]
	ds_write_b64 v100, v[112:113] offset:128
	s_waitcnt lgkmcnt(0)
	s_barrier
	ds_read2_b64 v[0:3], v24 offset0:92 offset1:194
	ds_read2_b64 v[4:7], v99 offset0:68 offset1:136
	;; [unrolled: 1-line block ×7, first 2 shown]
	ds_read_b64 v[114:115], v120
	ds_read_b64 v[116:117], v99 offset:8432
                                        ; implicit-def: $vgpr118_vgpr119
	s_and_saveexec_b64 s[4:5], s[2:3]
	s_cbranch_execz .LBB0_14
; %bb.13:
	ds_read_b64 v[112:113], v99 offset:4352
	ds_read_b64 v[118:119], v99 offset:8976
.LBB0_14:
	s_or_b64 exec, exec, s[4:5]
	s_movk_i32 s4, 0xf1
	v_mul_lo_u16_sdwa v28, v98, s4 dst_sel:DWORD dst_unused:UNUSED_PAD src0_sel:BYTE_0 src1_sel:DWORD
	v_lshrrev_b16_e32 v67, 12, v28
	v_mul_lo_u16_e32 v28, 17, v67
	v_sub_u16_e32 v100, v98, v28
	v_add_u16_e32 v28, 0x44, v98
	v_mul_lo_u16_sdwa v29, v28, s4 dst_sel:DWORD dst_unused:UNUSED_PAD src0_sel:BYTE_0 src1_sel:DWORD
	v_lshrrev_b16_e32 v101, 12, v29
	v_mov_b32_e32 v37, 4
	v_mul_lo_u16_e32 v29, 17, v101
	v_lshlrev_b32_sdwa v38, v37, v100 dst_sel:DWORD dst_unused:UNUSED_PAD src0_sel:DWORD src1_sel:BYTE_0
	v_sub_u16_e32 v122, v28, v29
	v_lshlrev_b32_sdwa v39, v37, v122 dst_sel:DWORD dst_unused:UNUSED_PAD src0_sel:DWORD src1_sel:BYTE_0
	global_load_dwordx4 v[32:35], v38, s[8:9]
	global_load_dwordx4 v[28:31], v39, s[8:9]
	v_add_u16_e32 v38, 0x88, v98
	v_mul_lo_u16_sdwa v39, v38, s4 dst_sel:DWORD dst_unused:UNUSED_PAD src0_sel:BYTE_0 src1_sel:DWORD
	v_lshrrev_b16_e32 v123, 12, v39
	v_mul_lo_u16_e32 v39, 17, v123
	v_add_u32_e32 v36, 0xcc, v98
	v_sub_u16_e32 v124, v38, v39
	s_mov_b32 s4, 0xf0f1
	v_lshlrev_b32_sdwa v44, v37, v124 dst_sel:DWORD dst_unused:UNUSED_PAD src0_sel:DWORD src1_sel:BYTE_0
	v_mul_u32_u24_sdwa v37, v36, s4 dst_sel:DWORD dst_unused:UNUSED_PAD src0_sel:WORD_0 src1_sel:DWORD
	v_lshrrev_b32_e32 v125, 20, v37
	v_mul_lo_u16_e32 v37, 17, v125
	v_add_u32_e32 v102, 0x110, v98
	v_sub_u16_e32 v126, v36, v37
	v_lshlrev_b32_e32 v45, 4, v126
	global_load_dwordx4 v[36:39], v44, s[8:9]
	global_load_dwordx4 v[40:43], v45, s[8:9]
	v_mul_u32_u24_sdwa v44, v102, s4 dst_sel:DWORD dst_unused:UNUSED_PAD src0_sel:WORD_0 src1_sel:DWORD
	v_lshrrev_b32_e32 v143, 20, v44
	v_add_u32_e32 v103, 0x154, v98
	v_mul_lo_u16_e32 v44, 17, v143
	v_sub_u16_e32 v144, v102, v44
	v_mul_u32_u24_sdwa v44, v103, s4 dst_sel:DWORD dst_unused:UNUSED_PAD src0_sel:WORD_0 src1_sel:DWORD
	v_lshrrev_b32_e32 v145, 20, v44
	v_mul_lo_u16_e32 v44, 17, v145
	v_sub_u16_e32 v146, v103, v44
	v_add_u32_e32 v66, 0x198, v98
	v_add_u32_e32 v64, 0x1dc, v98
	v_lshlrev_b32_e32 v52, 4, v144
	v_lshlrev_b32_e32 v53, 4, v146
	global_load_dwordx4 v[44:47], v52, s[8:9]
	global_load_dwordx4 v[48:51], v53, s[8:9]
	v_mul_u32_u24_sdwa v52, v66, s4 dst_sel:DWORD dst_unused:UNUSED_PAD src0_sel:WORD_0 src1_sel:DWORD
	v_mul_u32_u24_sdwa v53, v64, s4 dst_sel:DWORD dst_unused:UNUSED_PAD src0_sel:WORD_0 src1_sel:DWORD
	v_lshrrev_b32_e32 v147, 20, v52
	v_lshrrev_b32_e32 v149, 20, v53
	v_mul_lo_u16_e32 v52, 17, v147
	v_mul_lo_u16_e32 v53, 17, v149
	v_sub_u16_e32 v148, v66, v52
	v_sub_u16_e32 v150, v64, v53
	v_lshlrev_b32_e32 v52, 4, v148
	v_lshlrev_b32_e32 v56, 4, v150
	global_load_dwordx4 v[52:55], v52, s[8:9]
	s_nop 0
	global_load_dwordx4 v[56:59], v56, s[8:9]
	v_add_u32_e32 v65, 0x220, v98
	v_mul_u32_u24_sdwa v60, v65, s4 dst_sel:DWORD dst_unused:UNUSED_PAD src0_sel:WORD_0 src1_sel:DWORD
	v_lshrrev_b32_e32 v151, 20, v60
	v_mul_lo_u16_e32 v60, 17, v151
	v_sub_u16_e32 v152, v65, v60
	v_lshlrev_b32_e32 v60, 4, v152
	global_load_dwordx4 v[60:63], v60, s[8:9]
	s_movk_i32 s4, 0x110
	v_mov_b32_e32 v127, 3
	v_mad_u32_u24 v67, v67, s4, 0
	v_mad_u32_u24 v101, v101, s4, 0
	;; [unrolled: 1-line block ×3, first 2 shown]
	v_lshlrev_b32_sdwa v100, v127, v100 dst_sel:DWORD dst_unused:UNUSED_PAD src0_sel:DWORD src1_sel:BYTE_0
	v_lshlrev_b32_sdwa v123, v127, v122 dst_sel:DWORD dst_unused:UNUSED_PAD src0_sel:DWORD src1_sel:BYTE_0
	v_add3_u32 v122, v67, v100, v121
	v_add3_u32 v123, v101, v123, v121
	v_mad_u32_u24 v153, v125, s4, 0
	v_lshlrev_b32_sdwa v124, v127, v124 dst_sel:DWORD dst_unused:UNUSED_PAD src0_sel:DWORD src1_sel:BYTE_0
	v_lshlrev_b32_e32 v154, 3, v126
	v_add3_u32 v124, v128, v124, v121
	s_waitcnt vmcnt(0) lgkmcnt(0)
	s_barrier
	v_mul_f64 v[100:101], v[2:3], v[34:35]
	v_mul_f64 v[125:126], v[16:17], v[30:31]
	v_fma_f64 v[100:101], v[70:71], v[32:33], -v[100:101]
	v_fma_f64 v[125:126], v[72:73], v[28:29], -v[125:126]
	v_mul_f64 v[127:128], v[18:19], v[38:39]
	v_mul_f64 v[129:130], v[20:21], v[42:43]
	v_add_f64 v[141:142], v[110:111], -v[100:101]
	v_add_f64 v[125:126], v[84:85], -v[125:126]
	v_fma_f64 v[127:128], v[74:75], v[36:37], -v[127:128]
	v_fma_f64 v[129:130], v[80:81], v[40:41], -v[129:130]
	v_fma_f64 v[110:111], v[110:111], 2.0, -v[141:142]
	v_fma_f64 v[84:85], v[84:85], 2.0, -v[125:126]
	v_mul_f64 v[131:132], v[22:23], v[46:47]
	v_mul_f64 v[133:134], v[24:25], v[50:51]
	v_add_f64 v[127:128], v[86:87], -v[127:128]
	v_add_f64 v[129:130], v[88:89], -v[129:130]
	v_fma_f64 v[131:132], v[82:83], v[44:45], -v[131:132]
	v_fma_f64 v[133:134], v[76:77], v[48:49], -v[133:134]
	v_fma_f64 v[86:87], v[86:87], 2.0, -v[127:128]
	v_mul_f64 v[135:136], v[26:27], v[54:55]
	v_mul_f64 v[137:138], v[116:117], v[58:59]
	v_fma_f64 v[88:89], v[88:89], 2.0, -v[129:130]
	ds_write2_b64 v122, v[110:111], v[141:142] offset1:17
	ds_write2_b64 v123, v[84:85], v[125:126] offset1:17
	;; [unrolled: 1-line block ×3, first 2 shown]
	v_add_f64 v[131:132], v[90:91], -v[131:132]
	v_add_f64 v[133:134], v[92:93], -v[133:134]
	v_mul_f64 v[139:140], v[118:119], v[62:63]
	v_fma_f64 v[135:136], v[78:79], v[52:53], -v[135:136]
	v_fma_f64 v[137:138], v[106:107], v[56:57], -v[137:138]
	v_lshlrev_b32_e32 v85, 3, v144
	v_lshlrev_b32_e32 v86, 3, v146
	v_add3_u32 v84, v153, v154, v121
	v_fma_f64 v[90:91], v[90:91], 2.0, -v[131:132]
	v_fma_f64 v[92:93], v[92:93], 2.0, -v[133:134]
	v_fma_f64 v[139:140], v[108:109], v[60:61], -v[139:140]
	v_add_f64 v[135:136], v[94:95], -v[135:136]
	v_add_f64 v[137:138], v[68:69], -v[137:138]
	v_lshlrev_b32_e32 v87, 3, v148
	ds_write2_b64 v84, v[88:89], v[129:130] offset1:17
	v_lshl_add_u32 v88, v152, 3, 0
	v_add_f64 v[100:101], v[104:105], -v[139:140]
	v_fma_f64 v[94:95], v[94:95], 2.0, -v[135:136]
	v_fma_f64 v[67:68], v[68:69], 2.0, -v[137:138]
	v_mad_u32_u24 v69, v143, s4, 0
	v_add3_u32 v85, v69, v85, v121
	v_mad_u32_u24 v69, v145, s4, 0
	v_add3_u32 v86, v69, v86, v121
	;; [unrolled: 2-line block ×3, first 2 shown]
	v_mad_u32_u24 v69, v149, s4, 0
	v_lshlrev_b32_e32 v87, 3, v150
	ds_write2_b64 v85, v[90:91], v[131:132] offset1:17
	v_add3_u32 v90, v69, v87, v121
	v_mul_lo_u16_e32 v87, 34, v151
	ds_write2_b64 v86, v[92:93], v[133:134] offset1:17
	ds_write2_b64 v89, v[94:95], v[135:136] offset1:17
	;; [unrolled: 1-line block ×3, first 2 shown]
	s_and_saveexec_b64 s[4:5], s[2:3]
	s_cbranch_execz .LBB0_16
; %bb.15:
	v_fma_f64 v[67:68], v[104:105], 2.0, -v[100:101]
	v_lshlrev_b32_e32 v69, 3, v87
	v_add3_u32 v69, v88, v69, v121
	ds_write2_b64 v69, v[67:68], v[100:101] offset1:17
.LBB0_16:
	s_or_b64 exec, exec, s[4:5]
	v_mul_f64 v[34:35], v[70:71], v[34:35]
	v_mul_f64 v[30:31], v[72:73], v[30:31]
	;; [unrolled: 1-line block ×8, first 2 shown]
	v_fma_f64 v[2:3], v[2:3], v[32:33], v[34:35]
	v_mul_f64 v[32:33], v[108:109], v[62:63]
	v_fma_f64 v[16:17], v[16:17], v[28:29], v[30:31]
	v_fma_f64 v[18:19], v[18:19], v[36:37], v[38:39]
	;; [unrolled: 1-line block ×8, first 2 shown]
	v_add_f64 v[34:35], v[114:115], -v[2:3]
	v_add_f64 v[36:37], v[4:5], -v[16:17]
	;; [unrolled: 1-line block ×8, first 2 shown]
	v_fma_f64 v[50:51], v[114:115], 2.0, -v[34:35]
	v_add_f64 v[56:57], v[112:113], -v[30:31]
	v_fma_f64 v[52:53], v[4:5], 2.0, -v[36:37]
	v_fma_f64 v[54:55], v[6:7], 2.0, -v[38:39]
	v_add_u32_e32 v62, 0x400, v99
	v_add_u32_e32 v63, 0x800, v99
	;; [unrolled: 1-line block ×7, first 2 shown]
	v_fma_f64 v[70:71], v[8:9], 2.0, -v[40:41]
	v_fma_f64 v[72:73], v[10:11], 2.0, -v[42:43]
	;; [unrolled: 1-line block ×5, first 2 shown]
	s_waitcnt lgkmcnt(0)
	s_barrier
	ds_read_b64 v[59:60], v120
	ds_read2_b64 v[28:31], v99 offset0:68 offset1:136
	ds_read2_b64 v[24:27], v62 offset0:76 offset1:144
	;; [unrolled: 1-line block ×8, first 2 shown]
	s_waitcnt lgkmcnt(0)
	s_barrier
	ds_write2_b64 v122, v[50:51], v[34:35] offset1:17
	ds_write2_b64 v123, v[52:53], v[36:37] offset1:17
	;; [unrolled: 1-line block ×8, first 2 shown]
	s_and_saveexec_b64 s[4:5], s[2:3]
	s_cbranch_execz .LBB0_18
; %bb.17:
	v_fma_f64 v[34:35], v[112:113], 2.0, -v[56:57]
	v_lshlrev_b32_e32 v36, 3, v87
	v_add3_u32 v36, v88, v36, v121
	ds_write2_b64 v36, v[34:35], v[56:57] offset1:17
.LBB0_18:
	s_or_b64 exec, exec, s[4:5]
	v_subrev_u32_e32 v58, 34, v98
	v_cndmask_b32_e64 v116, v58, v98, s[2:3]
	v_lshlrev_b32_e32 v34, 4, v116
	v_mov_b32_e32 v35, 0
	v_lshlrev_b64 v[34:35], 4, v[34:35]
	v_mov_b32_e32 v36, s9
	v_add_co_u32_e32 v42, vcc, s8, v34
	v_addc_co_u32_e32 v43, vcc, v36, v35, vcc
	s_waitcnt lgkmcnt(0)
	s_barrier
	global_load_dwordx4 v[34:37], v[42:43], off offset:272
	global_load_dwordx4 v[38:41], v[42:43], off offset:288
	;; [unrolled: 1-line block ×16, first 2 shown]
	ds_read_b64 v[42:43], v120
	ds_read2_b64 v[76:79], v99 offset0:68 offset1:136
	ds_read2_b64 v[146:149], v62 offset0:76 offset1:144
	;; [unrolled: 1-line block ×8, first 2 shown]
	s_mov_b32 s34, 0xeb564b22
	s_mov_b32 s35, 0xbfefdd0d
	s_mov_b32 s24, 0x5d8e7cdc
	s_mov_b32 s40, 0x2a9d6da3
	s_mov_b32 s42, 0x7c9e640b
	s_mov_b32 s14, 0x3259b75e
	s_mov_b32 s36, 0xacd6c6b4
	s_mov_b32 s25, 0xbfd71e95
	s_mov_b32 s41, 0xbfe58eea
	s_mov_b32 s43, 0xbfeca52d
	s_mov_b32 s15, 0x3fb79ee6
	s_mov_b32 s37, 0xbfc7851a
	s_mov_b32 s6, 0x370991
	s_mov_b32 s10, 0x75d4884
	s_mov_b32 s4, 0x2b2883cd
	s_mov_b32 s18, 0x923c349f
	s_mov_b32 s22, 0x6c9a05f6
	s_mov_b32 s28, 0x4363dd80
	s_mov_b32 s30, 0x7faef3
	s_mov_b32 s7, 0x3fedd6d0
	s_mov_b32 s11, 0x3fe7a5f6
	s_mov_b32 s5, 0x3fdc86fa
	s_mov_b32 s19, 0xbfeec746
	s_mov_b32 s23, 0xbfe9895b
	s_mov_b32 s29, 0xbfe0d888
	s_mov_b32 s31, 0xbfef7484
	s_mov_b32 s51, 0x3fe0d888
	s_mov_b32 s50, s28
	s_mov_b32 s20, 0x6ed5f1bb
	s_mov_b32 s26, 0x910ea3b9
	s_mov_b32 s21, 0xbfe348c8
	s_mov_b32 s27, 0xbfeb34fa
	s_mov_b32 s45, 0x3feec746
	s_mov_b32 s39, 0x3feca52d
	s_mov_b32 s44, s18
	s_mov_b32 s38, s42
	s_mov_b32 s47, 0x3fd71e95
	s_mov_b32 s46, s24
	s_mov_b32 s57, 0x3fc7851a
	s_mov_b32 s56, s36
	s_mov_b32 s49, 0x3fe58eea
	s_mov_b32 s48, s40
	s_mov_b32 s55, 0x3fe9895b
	s_mov_b32 s54, s22
	s_mov_b32 s53, 0x3fefdd0d
	s_mov_b32 s52, s34
	v_cmp_lt_u32_e32 vcc, 33, v98
	v_lshlrev_b32_e32 v116, 3, v116
	s_waitcnt vmcnt(0) lgkmcnt(0)
	s_barrier
	v_mul_f64 v[32:33], v[76:77], v[36:37]
	v_mul_f64 v[70:71], v[78:79], v[40:41]
	;; [unrolled: 1-line block ×8, first 2 shown]
	v_fma_f64 v[108:109], v[28:29], v[34:35], -v[32:33]
	v_fma_f64 v[104:105], v[30:31], v[38:39], -v[70:71]
	v_mul_f64 v[174:175], v[154:155], v[82:83]
	v_fma_f64 v[92:93], v[24:25], v[44:45], -v[92:93]
	v_fma_f64 v[94:95], v[78:79], v[38:39], v[40:41]
	v_mul_f64 v[50:51], v[26:27], v[50:51]
	v_fma_f64 v[78:79], v[26:27], v[48:49], -v[106:107]
	v_mul_f64 v[54:55], v[20:21], v[54:55]
	v_add_f64 v[28:29], v[59:60], v[108:109]
	v_mul_f64 v[117:118], v[152:153], v[74:75]
	v_mul_f64 v[82:83], v[16:17], v[82:83]
	v_mul_f64 v[176:177], v[156:157], v[86:87]
	v_mul_f64 v[86:87], v[18:19], v[86:87]
	v_mul_f64 v[186:187], v[162:163], v[124:125]
	v_mul_f64 v[196:197], v[172:173], v[144:145]
	v_mul_f64 v[144:145], v[10:11], v[144:145]
	v_add_f64 v[24:25], v[28:29], v[104:105]
	v_fma_f64 v[70:71], v[20:21], v[52:53], -v[114:115]
	v_fma_f64 v[38:39], v[16:17], v[80:81], -v[174:175]
	v_mul_f64 v[182:183], v[160:161], v[112:113]
	v_mul_f64 v[184:185], v[14:15], v[112:113]
	;; [unrolled: 1-line block ×5, first 2 shown]
	v_add_f64 v[24:25], v[24:25], v[92:93]
	v_mul_f64 v[140:141], v[8:9], v[140:141]
	v_fma_f64 v[112:113], v[76:77], v[34:35], v[36:37]
	v_fma_f64 v[76:77], v[148:149], v[48:49], v[50:51]
	;; [unrolled: 1-line block ×3, first 2 shown]
	v_fma_f64 v[48:49], v[22:23], v[72:73], -v[117:118]
	v_fma_f64 v[32:33], v[18:19], v[84:85], -v[176:177]
	v_fma_f64 v[28:29], v[156:157], v[84:85], v[86:87]
	v_add_f64 v[16:17], v[24:25], v[78:79]
	v_fma_f64 v[52:53], v[4:5], v[122:123], -v[186:187]
	v_fma_f64 v[84:85], v[172:173], v[142:143], v[144:145]
	v_mul_f64 v[132:133], v[0:1], v[132:133]
	v_mul_f64 v[192:193], v[168:169], v[136:137]
	v_fma_f64 v[36:37], v[154:155], v[80:81], v[82:83]
	v_fma_f64 v[82:83], v[0:1], v[130:131], -v[190:191]
	v_fma_f64 v[114:115], v[10:11], v[142:143], -v[196:197]
	v_add_f64 v[4:5], v[16:17], v[70:71]
	v_fma_f64 v[86:87], v[170:171], v[138:139], v[140:141]
	v_mul_f64 v[74:75], v[22:23], v[74:75]
	v_mul_f64 v[178:179], v[158:159], v[90:91]
	;; [unrolled: 1-line block ×5, first 2 shown]
	v_fma_f64 v[90:91], v[146:147], v[44:45], v[46:47]
	v_add_f64 v[0:1], v[4:5], v[48:49]
	v_add_f64 v[4:5], v[112:113], -v[84:85]
	v_fma_f64 v[44:45], v[14:15], v[110:111], -v[182:183]
	v_fma_f64 v[40:41], v[160:161], v[110:111], v[184:185]
	v_fma_f64 v[110:111], v[8:9], v[138:139], -v[194:195]
	v_fma_f64 v[106:107], v[2:3], v[134:135], -v[192:193]
	v_add_f64 v[2:3], v[108:109], v[114:115]
	v_add_f64 v[8:9], v[94:95], -v[86:87]
	v_mul_f64 v[128:129], v[6:7], v[128:129]
	v_mul_f64 v[16:17], v[4:5], s[34:35]
	v_fma_f64 v[46:47], v[152:153], v[72:73], v[74:75]
	v_fma_f64 v[34:35], v[12:13], v[88:89], -v[178:179]
	v_fma_f64 v[30:31], v[158:159], v[88:89], v[180:181]
	v_fma_f64 v[50:51], v[162:163], v[122:123], v[124:125]
	v_fma_f64 v[74:75], v[6:7], v[126:127], -v[188:189]
	v_fma_f64 v[88:89], v[168:169], v[134:135], v[136:137]
	v_add_f64 v[6:7], v[104:105], v[110:111]
	v_mul_f64 v[10:11], v[4:5], s[24:25]
	v_mul_f64 v[12:13], v[4:5], s[40:41]
	;; [unrolled: 1-line block ×4, first 2 shown]
	v_fma_f64 v[136:137], v[2:3], s[14:15], -v[16:17]
	v_fma_f64 v[16:17], v[2:3], s[14:15], v[16:17]
	v_fma_f64 v[80:81], v[166:167], v[130:131], v[132:133]
	v_mul_f64 v[18:19], v[4:5], s[18:19]
	v_mul_f64 v[20:21], v[4:5], s[22:23]
	;; [unrolled: 1-line block ×8, first 2 shown]
	v_fma_f64 v[130:131], v[2:3], s[6:7], -v[10:11]
	v_fma_f64 v[10:11], v[2:3], s[6:7], v[10:11]
	v_fma_f64 v[132:133], v[2:3], s[10:11], -v[12:13]
	v_fma_f64 v[12:13], v[2:3], s[10:11], v[12:13]
	v_fma_f64 v[134:135], v[2:3], s[4:5], -v[14:15]
	v_fma_f64 v[150:151], v[6:7], s[30:31], -v[122:123]
	v_fma_f64 v[122:123], v[6:7], s[30:31], v[122:123]
	v_add_f64 v[16:17], v[59:60], v[16:17]
	v_fma_f64 v[72:73], v[164:165], v[126:127], v[128:129]
	v_mul_f64 v[126:127], v[8:9], s[44:45]
	v_mul_f64 v[128:129], v[8:9], s[38:39]
	v_fma_f64 v[14:15], v[2:3], s[4:5], v[14:15]
	v_fma_f64 v[138:139], v[2:3], s[16:17], -v[18:19]
	v_fma_f64 v[18:19], v[2:3], s[16:17], v[18:19]
	v_fma_f64 v[140:141], v[2:3], s[20:21], -v[20:21]
	;; [unrolled: 2-line block ×7, first 2 shown]
	v_fma_f64 v[152:153], v[6:7], s[26:27], -v[124:125]
	v_add_f64 v[130:131], v[59:60], v[130:131]
	v_add_f64 v[10:11], v[59:60], v[10:11]
	;; [unrolled: 1-line block ×7, first 2 shown]
	v_fma_f64 v[122:123], v[6:7], s[26:27], v[124:125]
	v_add_f64 v[124:125], v[90:91], -v[88:89]
	v_add_f64 v[14:15], v[59:60], v[14:15]
	v_add_f64 v[138:139], v[59:60], v[138:139]
	;; [unrolled: 1-line block ×15, first 2 shown]
	v_fma_f64 v[130:131], v[6:7], s[16:17], -v[126:127]
	v_fma_f64 v[132:133], v[6:7], s[4:5], -v[128:129]
	v_mul_f64 v[8:9], v[8:9], s[46:47]
	v_add_f64 v[134:135], v[92:93], v[106:107]
	v_mul_f64 v[136:137], v[124:125], s[42:43]
	v_fma_f64 v[128:129], v[6:7], s[4:5], v[128:129]
	v_fma_f64 v[117:118], v[6:7], s[20:21], v[117:118]
	;; [unrolled: 1-line block ×3, first 2 shown]
	v_add_f64 v[18:19], v[122:123], v[18:19]
	v_add_f64 v[122:123], v[130:131], v[140:141]
	v_fma_f64 v[130:131], v[6:7], s[6:7], -v[8:9]
	v_fma_f64 v[6:7], v[6:7], s[6:7], v[8:9]
	v_fma_f64 v[8:9], v[134:135], s[4:5], -v[136:137]
	v_add_f64 v[22:23], v[128:129], v[22:23]
	v_mul_f64 v[128:129], v[124:125], s[22:23]
	v_add_f64 v[20:21], v[126:127], v[20:21]
	v_add_f64 v[126:127], v[132:133], v[142:143]
	v_mul_f64 v[132:133], v[124:125], s[56:57]
	v_mul_f64 v[140:141], v[124:125], s[48:49]
	v_add_f64 v[2:3], v[6:7], v[2:3]
	v_add_f64 v[4:5], v[8:9], v[4:5]
	v_fma_f64 v[6:7], v[134:135], s[4:5], v[136:137]
	v_fma_f64 v[8:9], v[134:135], s[20:21], -v[128:129]
	v_mul_f64 v[136:137], v[124:125], s[44:45]
	v_fma_f64 v[128:129], v[134:135], s[20:21], v[128:129]
	v_add_f64 v[14:15], v[117:118], v[14:15]
	v_add_f64 v[117:118], v[152:153], v[138:139]
	v_fma_f64 v[138:139], v[134:135], s[30:31], -v[132:133]
	v_add_f64 v[130:131], v[130:131], v[144:145]
	v_add_f64 v[6:7], v[6:7], v[10:11]
	v_fma_f64 v[10:11], v[134:135], s[30:31], v[132:133]
	v_fma_f64 v[132:133], v[134:135], s[16:17], -v[136:137]
	v_add_f64 v[8:9], v[8:9], v[24:25]
	v_add_f64 v[12:13], v[128:129], v[12:13]
	v_fma_f64 v[24:25], v[134:135], s[16:17], v[136:137]
	v_fma_f64 v[128:129], v[134:135], s[10:11], -v[140:141]
	v_mul_f64 v[136:137], v[124:125], s[24:25]
	v_add_f64 v[26:27], v[138:139], v[26:27]
	v_add_f64 v[10:11], v[10:11], v[14:15]
	;; [unrolled: 1-line block ×3, first 2 shown]
	v_mul_f64 v[59:60], v[124:125], s[34:35]
	v_fma_f64 v[132:133], v[134:135], s[10:11], v[140:141]
	v_add_f64 v[16:17], v[24:25], v[16:17]
	v_add_f64 v[24:25], v[76:77], -v[80:81]
	v_add_f64 v[117:118], v[128:129], v[117:118]
	v_fma_f64 v[128:129], v[134:135], s[6:7], -v[136:137]
	v_mul_f64 v[124:125], v[124:125], s[28:29]
	v_fma_f64 v[136:137], v[134:135], s[6:7], v[136:137]
	v_fma_f64 v[138:139], v[134:135], s[14:15], -v[59:60]
	v_add_f64 v[18:19], v[132:133], v[18:19]
	v_add_f64 v[132:133], v[78:79], v[82:83]
	v_mul_f64 v[140:141], v[24:25], s[34:35]
	v_fma_f64 v[59:60], v[134:135], s[14:15], v[59:60]
	v_add_f64 v[122:123], v[128:129], v[122:123]
	v_fma_f64 v[128:129], v[134:135], s[26:27], -v[124:125]
	v_add_f64 v[20:21], v[136:137], v[20:21]
	v_add_f64 v[126:127], v[138:139], v[126:127]
	v_mul_f64 v[138:139], v[24:25], s[46:47]
	v_fma_f64 v[124:125], v[134:135], s[26:27], v[124:125]
	v_fma_f64 v[136:137], v[132:133], s[14:15], -v[140:141]
	v_add_f64 v[22:23], v[59:60], v[22:23]
	v_mul_f64 v[59:60], v[24:25], s[44:45]
	v_add_f64 v[128:129], v[128:129], v[130:131]
	v_fma_f64 v[130:131], v[132:133], s[14:15], v[140:141]
	v_mul_f64 v[134:135], v[24:25], s[36:37]
	v_mul_f64 v[140:141], v[24:25], s[42:43]
	v_add_f64 v[2:3], v[124:125], v[2:3]
	v_add_f64 v[4:5], v[136:137], v[4:5]
	;; [unrolled: 1-line block ×3, first 2 shown]
	v_fma_f64 v[136:137], v[132:133], s[16:17], -v[59:60]
	v_fma_f64 v[59:60], v[132:133], s[16:17], v[59:60]
	v_add_f64 v[6:7], v[130:131], v[6:7]
	v_fma_f64 v[130:131], v[132:133], s[6:7], -v[138:139]
	v_fma_f64 v[124:125], v[132:133], s[30:31], -v[134:135]
	v_fma_f64 v[134:135], v[132:133], s[30:31], v[134:135]
	v_add_f64 v[0:1], v[0:1], v[32:33]
	v_add_f64 v[26:27], v[136:137], v[26:27]
	;; [unrolled: 1-line block ×3, first 2 shown]
	v_fma_f64 v[59:60], v[132:133], s[6:7], v[138:139]
	v_add_f64 v[14:15], v[130:131], v[14:15]
	v_fma_f64 v[130:131], v[132:133], s[4:5], -v[140:141]
	v_add_f64 v[8:9], v[124:125], v[8:9]
	v_mul_f64 v[124:125], v[24:25], s[28:29]
	v_add_f64 v[12:13], v[134:135], v[12:13]
	v_fma_f64 v[134:135], v[132:133], s[4:5], v[140:141]
	v_mul_f64 v[138:139], v[24:25], s[54:55]
	v_add_f64 v[16:17], v[59:60], v[16:17]
	v_mul_f64 v[24:25], v[24:25], s[48:49]
	v_add_f64 v[59:60], v[130:131], v[117:118]
	v_add_f64 v[117:118], v[54:55], -v[72:73]
	v_fma_f64 v[136:137], v[132:133], s[26:27], -v[124:125]
	v_fma_f64 v[124:125], v[132:133], s[26:27], v[124:125]
	v_add_f64 v[18:19], v[134:135], v[18:19]
	v_fma_f64 v[130:131], v[132:133], s[20:21], -v[138:139]
	v_fma_f64 v[134:135], v[132:133], s[20:21], v[138:139]
	v_add_f64 v[138:139], v[70:71], v[74:75]
	v_add_f64 v[0:1], v[0:1], v[34:35]
	v_mul_f64 v[140:141], v[117:118], s[18:19]
	v_add_f64 v[122:123], v[136:137], v[122:123]
	v_fma_f64 v[136:137], v[132:133], s[10:11], -v[24:25]
	v_fma_f64 v[24:25], v[132:133], s[10:11], v[24:25]
	v_add_f64 v[20:21], v[124:125], v[20:21]
	v_mul_f64 v[124:125], v[117:118], s[50:51]
	v_add_f64 v[126:127], v[130:131], v[126:127]
	v_mul_f64 v[130:131], v[117:118], s[48:49]
	v_fma_f64 v[132:133], v[138:139], s[16:17], -v[140:141]
	v_add_f64 v[22:23], v[134:135], v[22:23]
	v_add_f64 v[128:129], v[136:137], v[128:129]
	;; [unrolled: 1-line block ×3, first 2 shown]
	v_fma_f64 v[24:25], v[138:139], s[16:17], v[140:141]
	v_fma_f64 v[134:135], v[138:139], s[26:27], -v[124:125]
	v_fma_f64 v[124:125], v[138:139], s[26:27], v[124:125]
	v_fma_f64 v[136:137], v[138:139], s[10:11], -v[130:131]
	v_mul_f64 v[140:141], v[117:118], s[42:43]
	v_fma_f64 v[130:131], v[138:139], s[10:11], v[130:131]
	v_add_f64 v[4:5], v[132:133], v[4:5]
	v_mul_f64 v[132:133], v[117:118], s[36:37]
	v_add_f64 v[6:7], v[24:25], v[6:7]
	v_add_f64 v[8:9], v[134:135], v[8:9]
	;; [unrolled: 1-line block ×4, first 2 shown]
	v_fma_f64 v[26:27], v[138:139], s[4:5], -v[140:141]
	v_add_f64 v[10:11], v[130:131], v[10:11]
	v_fma_f64 v[124:125], v[138:139], s[4:5], v[140:141]
	v_fma_f64 v[130:131], v[138:139], s[30:31], -v[132:133]
	v_mul_f64 v[134:135], v[117:118], s[52:53]
	v_fma_f64 v[132:133], v[138:139], s[30:31], v[132:133]
	v_add_f64 v[136:137], v[48:49], v[52:53]
	v_add_f64 v[0:1], v[0:1], v[44:45]
	;; [unrolled: 1-line block ×3, first 2 shown]
	v_mul_f64 v[26:27], v[117:118], s[24:25]
	v_add_f64 v[16:17], v[124:125], v[16:17]
	v_add_f64 v[59:60], v[130:131], v[59:60]
	v_add_f64 v[124:125], v[46:47], -v[50:51]
	v_mul_f64 v[117:118], v[117:118], s[22:23]
	v_fma_f64 v[130:131], v[138:139], s[14:15], -v[134:135]
	v_add_f64 v[18:19], v[132:133], v[18:19]
	v_fma_f64 v[132:133], v[138:139], s[14:15], v[134:135]
	v_fma_f64 v[134:135], v[138:139], s[6:7], -v[26:27]
	v_fma_f64 v[26:27], v[138:139], s[6:7], v[26:27]
	v_add_f64 v[0:1], v[0:1], v[52:53]
	v_mul_f64 v[140:141], v[124:125], s[22:23]
	v_fma_f64 v[142:143], v[138:139], s[20:21], -v[117:118]
	v_add_f64 v[122:123], v[130:131], v[122:123]
	v_fma_f64 v[117:118], v[138:139], s[20:21], v[117:118]
	v_mul_f64 v[130:131], v[124:125], s[44:45]
	v_add_f64 v[126:127], v[134:135], v[126:127]
	v_add_f64 v[22:23], v[26:27], v[22:23]
	v_mul_f64 v[134:135], v[124:125], s[28:29]
	v_fma_f64 v[26:27], v[136:137], s[20:21], -v[140:141]
	v_add_f64 v[20:21], v[132:133], v[20:21]
	v_mul_f64 v[132:133], v[124:125], s[24:25]
	v_add_f64 v[2:3], v[117:118], v[2:3]
	v_fma_f64 v[117:118], v[136:137], s[20:21], v[140:141]
	v_fma_f64 v[138:139], v[136:137], s[16:17], -v[130:131]
	v_fma_f64 v[130:131], v[136:137], s[16:17], v[130:131]
	v_add_f64 v[128:129], v[142:143], v[128:129]
	v_add_f64 v[4:5], v[26:27], v[4:5]
	v_mul_f64 v[26:27], v[124:125], s[52:53]
	v_fma_f64 v[140:141], v[136:137], s[6:7], -v[132:133]
	v_fma_f64 v[132:133], v[136:137], s[6:7], v[132:133]
	v_add_f64 v[6:7], v[117:118], v[6:7]
	v_fma_f64 v[117:118], v[136:137], s[26:27], -v[134:135]
	v_add_f64 v[12:13], v[130:131], v[12:13]
	v_fma_f64 v[130:131], v[136:137], s[26:27], v[134:135]
	v_add_f64 v[8:9], v[138:139], v[8:9]
	v_fma_f64 v[134:135], v[136:137], s[14:15], -v[26:27]
	v_fma_f64 v[26:27], v[136:137], s[14:15], v[26:27]
	v_add_f64 v[24:25], v[140:141], v[24:25]
	v_add_f64 v[10:11], v[132:133], v[10:11]
	;; [unrolled: 1-line block ×3, first 2 shown]
	v_mul_f64 v[117:118], v[124:125], s[36:37]
	v_add_f64 v[16:17], v[130:131], v[16:17]
	v_add_f64 v[130:131], v[36:37], -v[40:41]
	v_mul_f64 v[132:133], v[124:125], s[40:41]
	v_mul_f64 v[124:125], v[124:125], s[38:39]
	v_add_f64 v[18:19], v[26:27], v[18:19]
	v_add_f64 v[138:139], v[38:39], v[44:45]
	;; [unrolled: 1-line block ×3, first 2 shown]
	v_fma_f64 v[26:27], v[136:137], s[30:31], -v[117:118]
	v_fma_f64 v[117:118], v[136:137], s[30:31], v[117:118]
	v_mul_f64 v[140:141], v[130:131], s[28:29]
	v_fma_f64 v[134:135], v[136:137], s[10:11], -v[132:133]
	v_fma_f64 v[132:133], v[136:137], s[10:11], v[132:133]
	v_fma_f64 v[142:143], v[136:137], s[4:5], -v[124:125]
	v_fma_f64 v[124:125], v[136:137], s[4:5], v[124:125]
	v_add_f64 v[0:1], v[0:1], v[74:75]
	v_add_f64 v[26:27], v[26:27], v[126:127]
	v_mul_f64 v[126:127], v[130:131], s[38:39]
	v_add_f64 v[22:23], v[117:118], v[22:23]
	v_fma_f64 v[117:118], v[138:139], s[26:27], -v[140:141]
	v_add_f64 v[122:123], v[134:135], v[122:123]
	v_add_f64 v[20:21], v[132:133], v[20:21]
	v_mul_f64 v[132:133], v[130:131], s[34:35]
	v_fma_f64 v[134:135], v[138:139], s[26:27], v[140:141]
	v_add_f64 v[2:3], v[124:125], v[2:3]
	v_mul_f64 v[124:125], v[130:131], s[54:55]
	v_fma_f64 v[136:137], v[138:139], s[4:5], -v[126:127]
	v_fma_f64 v[126:127], v[138:139], s[4:5], v[126:127]
	v_add_f64 v[4:5], v[117:118], v[4:5]
	v_mul_f64 v[117:118], v[130:131], s[24:25]
	v_fma_f64 v[140:141], v[138:139], s[14:15], -v[132:133]
	v_add_f64 v[6:7], v[134:135], v[6:7]
	v_fma_f64 v[132:133], v[138:139], s[14:15], v[132:133]
	v_fma_f64 v[134:135], v[138:139], s[20:21], -v[124:125]
	v_fma_f64 v[124:125], v[138:139], s[20:21], v[124:125]
	v_add_f64 v[12:13], v[126:127], v[12:13]
	v_add_f64 v[8:9], v[136:137], v[8:9]
	v_fma_f64 v[126:127], v[138:139], s[6:7], -v[117:118]
	v_mul_f64 v[136:137], v[130:131], s[36:37]
	v_fma_f64 v[117:118], v[138:139], s[6:7], v[117:118]
	v_add_f64 v[10:11], v[132:133], v[10:11]
	v_mul_f64 v[132:133], v[130:131], s[48:49]
	v_add_f64 v[16:17], v[124:125], v[16:17]
	v_add_f64 v[24:25], v[140:141], v[24:25]
	v_add_f64 v[14:15], v[134:135], v[14:15]
	v_add_f64 v[124:125], v[126:127], v[59:60]
	v_add_f64 v[126:127], v[28:29], -v[30:31]
	v_fma_f64 v[59:60], v[138:139], s[30:31], -v[136:137]
	v_fma_f64 v[134:135], v[138:139], s[30:31], v[136:137]
	v_mul_f64 v[130:131], v[130:131], s[18:19]
	v_add_f64 v[18:19], v[117:118], v[18:19]
	v_fma_f64 v[117:118], v[138:139], s[10:11], -v[132:133]
	v_fma_f64 v[132:133], v[138:139], s[10:11], v[132:133]
	v_add_f64 v[136:137], v[32:33], v[34:35]
	v_mul_f64 v[140:141], v[126:127], s[36:37]
	v_add_f64 v[128:129], v[142:143], v[128:129]
	v_add_f64 v[122:123], v[59:60], v[122:123]
	;; [unrolled: 1-line block ×3, first 2 shown]
	v_fma_f64 v[59:60], v[138:139], s[16:17], -v[130:131]
	v_mul_f64 v[134:135], v[126:127], s[46:47]
	v_add_f64 v[26:27], v[117:118], v[26:27]
	v_add_f64 v[22:23], v[132:133], v[22:23]
	v_fma_f64 v[117:118], v[138:139], s[16:17], v[130:131]
	v_mul_f64 v[132:133], v[126:127], s[28:29]
	v_fma_f64 v[138:139], v[136:137], s[30:31], v[140:141]
	v_add_f64 v[0:1], v[0:1], v[82:83]
	v_fma_f64 v[130:131], v[136:137], s[30:31], -v[140:141]
	v_add_f64 v[128:129], v[59:60], v[128:129]
	v_fma_f64 v[140:141], v[136:137], s[6:7], -v[134:135]
	v_fma_f64 v[134:135], v[136:137], s[6:7], v[134:135]
	v_add_f64 v[2:3], v[117:118], v[2:3]
	v_fma_f64 v[117:118], v[136:137], s[26:27], -v[132:133]
	v_add_f64 v[60:61], v[138:139], v[6:7]
	v_fma_f64 v[6:7], v[136:137], s[26:27], v[132:133]
	v_mul_f64 v[142:143], v[126:127], s[48:49]
	v_add_f64 v[0:1], v[0:1], v[106:107]
	v_add_f64 v[4:5], v[130:131], v[4:5]
	;; [unrolled: 1-line block ×3, first 2 shown]
	v_mul_f64 v[134:135], v[126:127], s[22:23]
	v_add_f64 v[24:25], v[117:118], v[24:25]
	v_mul_f64 v[117:118], v[126:127], s[38:39]
	v_add_f64 v[6:7], v[6:7], v[10:11]
	v_mul_f64 v[10:11], v[126:127], s[18:19]
	v_mul_f64 v[126:127], v[126:127], s[52:53]
	v_fma_f64 v[130:131], v[136:137], s[10:11], -v[142:143]
	v_fma_f64 v[132:133], v[136:137], s[10:11], v[142:143]
	v_add_f64 v[0:1], v[0:1], v[110:111]
	v_add_f64 v[8:9], v[140:141], v[8:9]
	v_mov_b32_e32 v59, 0x1210
	v_cndmask_b32_e32 v59, 0, v59, vcc
	v_fma_f64 v[138:139], v[136:137], s[16:17], -v[10:11]
	v_fma_f64 v[10:11], v[136:137], s[16:17], v[10:11]
	v_fma_f64 v[140:141], v[136:137], s[14:15], -v[126:127]
	v_fma_f64 v[126:127], v[136:137], s[14:15], v[126:127]
	v_add_f64 v[14:15], v[130:131], v[14:15]
	v_add_f64 v[16:17], v[132:133], v[16:17]
	v_fma_f64 v[130:131], v[136:137], s[20:21], -v[134:135]
	v_fma_f64 v[132:133], v[136:137], s[20:21], v[134:135]
	v_fma_f64 v[134:135], v[136:137], s[4:5], -v[117:118]
	v_fma_f64 v[117:118], v[136:137], s[4:5], v[117:118]
	v_add_f64 v[0:1], v[0:1], v[114:115]
	v_add_f64 v[10:11], v[10:11], v[22:23]
	;; [unrolled: 1-line block ×9, first 2 shown]
	v_add_u32_e32 v59, 0, v59
	v_add3_u32 v59, v59, v116, v121
	ds_write2_b64 v59, v[0:1], v[4:5] offset1:34
	ds_write2_b64 v59, v[8:9], v[24:25] offset0:68 offset1:102
	ds_write2_b64 v59, v[14:15], v[124:125] offset0:136 offset1:170
	;; [unrolled: 1-line block ×3, first 2 shown]
	v_add_u32_e32 v0, 0x800, v59
	ds_write2_b64 v0, v[22:23], v[2:3] offset0:16 offset1:50
	ds_write2_b64 v0, v[10:11], v[20:21] offset0:84 offset1:118
	;; [unrolled: 1-line block ×4, first 2 shown]
	ds_write_b64 v59, v[60:61] offset:4352
	s_waitcnt lgkmcnt(0)
	s_barrier
	ds_read2_b64 v[8:11], v67 offset0:92 offset1:194
	ds_read2_b64 v[0:3], v99 offset0:68 offset1:136
	ds_read2_b64 v[16:19], v68 offset0:134 offset1:202
	ds_read2_b64 v[4:7], v62 offset0:76 offset1:144
	ds_read2_b64 v[20:23], v69 offset0:14 offset1:82
	ds_read2_b64 v[12:15], v63 offset0:84 offset1:152
	ds_read2_b64 v[24:27], v69 offset0:150 offset1:218
	ds_read_b64 v[62:63], v120
	ds_read_b64 v[68:69], v99 offset:8432
	s_and_saveexec_b64 s[58:59], s[2:3]
	s_cbranch_execz .LBB0_20
; %bb.19:
	ds_read_b64 v[60:61], v99 offset:4352
	ds_read_b64 v[100:101], v99 offset:8976
.LBB0_20:
	s_or_b64 exec, exec, s[58:59]
	v_add_f64 v[116:117], v[42:43], v[112:113]
	v_add_f64 v[108:109], v[108:109], -v[114:115]
	v_add_f64 v[114:115], v[94:95], v[86:87]
	v_add_f64 v[104:105], v[104:105], -v[110:111]
	v_add_f64 v[110:111], v[90:91], v[88:89]
	v_add_f64 v[112:113], v[112:113], v[84:85]
	v_add_f64 v[92:93], v[92:93], -v[106:107]
	v_add_f64 v[78:79], v[78:79], -v[82:83]
	v_add_f64 v[94:95], v[116:117], v[94:95]
	v_mul_f64 v[106:107], v[108:109], s[24:25]
	v_mul_f64 v[116:117], v[108:109], s[40:41]
	;; [unrolled: 1-line block ×7, first 2 shown]
	v_add_f64 v[90:91], v[94:95], v[90:91]
	v_mul_f64 v[108:109], v[108:109], s[36:37]
	v_mul_f64 v[94:95], v[104:105], s[40:41]
	;; [unrolled: 1-line block ×5, first 2 shown]
	v_fma_f64 v[151:152], v[112:113], s[6:7], v[106:107]
	v_fma_f64 v[153:154], v[112:113], s[10:11], v[116:117]
	v_add_f64 v[90:91], v[90:91], v[76:77]
	v_fma_f64 v[116:117], v[112:113], s[10:11], -v[116:117]
	v_fma_f64 v[155:156], v[112:113], s[4:5], v[118:119]
	v_fma_f64 v[118:119], v[112:113], s[4:5], -v[118:119]
	v_fma_f64 v[157:158], v[112:113], s[14:15], v[121:122]
	v_mul_f64 v[135:136], v[104:105], s[50:51]
	v_mul_f64 v[137:138], v[104:105], s[44:45]
	;; [unrolled: 1-line block ×3, first 2 shown]
	v_add_f64 v[90:91], v[90:91], v[54:55]
	v_mul_f64 v[104:105], v[104:105], s[46:47]
	v_mul_f64 v[141:142], v[92:93], s[42:43]
	;; [unrolled: 1-line block ×5, first 2 shown]
	v_fma_f64 v[106:107], v[112:113], s[6:7], -v[106:107]
	v_fma_f64 v[121:122], v[112:113], s[14:15], -v[121:122]
	v_add_f64 v[90:91], v[90:91], v[46:47]
	v_fma_f64 v[159:160], v[112:113], s[16:17], v[123:124]
	v_fma_f64 v[123:124], v[112:113], s[16:17], -v[123:124]
	v_fma_f64 v[161:162], v[112:113], s[20:21], v[125:126]
	v_fma_f64 v[125:126], v[112:113], s[20:21], -v[125:126]
	;; [unrolled: 2-line block ×3, first 2 shown]
	v_fma_f64 v[165:166], v[112:113], s[30:31], v[108:109]
	v_add_f64 v[90:91], v[90:91], v[36:37]
	v_fma_f64 v[108:109], v[112:113], s[30:31], -v[108:109]
	v_fma_f64 v[112:113], v[114:115], s[10:11], v[94:95]
	v_fma_f64 v[167:168], v[114:115], s[14:15], v[129:130]
	v_fma_f64 v[129:130], v[114:115], s[14:15], -v[129:130]
	v_fma_f64 v[169:170], v[114:115], s[20:21], v[131:132]
	v_fma_f64 v[131:132], v[114:115], s[20:21], -v[131:132]
	v_fma_f64 v[171:172], v[114:115], s[30:31], v[133:134]
	v_add_f64 v[90:91], v[90:91], v[28:29]
	v_add_f64 v[151:152], v[42:43], v[151:152]
	;; [unrolled: 1-line block ×6, first 2 shown]
	v_mul_f64 v[149:150], v[92:93], s[48:49]
	v_fma_f64 v[94:95], v[114:115], s[10:11], -v[94:95]
	v_add_f64 v[90:91], v[90:91], v[30:31]
	v_fma_f64 v[133:134], v[114:115], s[30:31], -v[133:134]
	v_fma_f64 v[173:174], v[114:115], s[26:27], v[135:136]
	v_fma_f64 v[135:136], v[114:115], s[26:27], -v[135:136]
	v_fma_f64 v[175:176], v[114:115], s[16:17], v[137:138]
	;; [unrolled: 2-line block ×3, first 2 shown]
	v_fma_f64 v[139:140], v[114:115], s[4:5], -v[139:140]
	v_add_f64 v[90:91], v[90:91], v[40:41]
	v_fma_f64 v[179:180], v[114:115], s[6:7], v[104:105]
	v_fma_f64 v[104:105], v[114:115], s[6:7], -v[104:105]
	v_fma_f64 v[114:115], v[110:111], s[4:5], v[141:142]
	v_fma_f64 v[181:182], v[110:111], s[20:21], v[143:144]
	v_fma_f64 v[143:144], v[110:111], s[20:21], -v[143:144]
	v_fma_f64 v[183:184], v[110:111], s[30:31], v[145:146]
	v_fma_f64 v[145:146], v[110:111], s[30:31], -v[145:146]
	v_add_f64 v[90:91], v[90:91], v[50:51]
	v_fma_f64 v[185:186], v[110:111], s[16:17], v[147:148]
	v_add_f64 v[106:107], v[42:43], v[106:107]
	v_add_f64 v[153:154], v[42:43], v[153:154]
	v_add_f64 v[121:122], v[42:43], v[121:122]
	v_add_f64 v[159:160], v[42:43], v[159:160]
	v_add_f64 v[123:124], v[42:43], v[123:124]
	v_add_f64 v[161:162], v[42:43], v[161:162]
	v_add_f64 v[90:91], v[90:91], v[72:73]
	v_add_f64 v[125:126], v[42:43], v[125:126]
	v_add_f64 v[163:164], v[42:43], v[163:164]
	v_add_f64 v[127:128], v[42:43], v[127:128]
	v_add_f64 v[165:166], v[42:43], v[165:166]
	v_add_f64 v[42:43], v[42:43], v[108:109]
	v_add_f64 v[108:109], v[112:113], v[151:152]
	v_add_f64 v[112:113], v[129:130], v[116:117]
	v_add_f64 v[90:91], v[90:91], v[80:81]
	v_add_f64 v[116:117], v[169:170], v[155:156]
	v_add_f64 v[118:119], v[131:132], v[118:119]
	v_add_f64 v[129:130], v[171:172], v[157:158]
	v_add_f64 v[123:124], v[135:136], v[123:124]
	v_add_f64 v[42:43], v[104:105], v[42:43]
	v_add_f64 v[104:105], v[114:115], v[108:109]
	v_add_f64 v[108:109], v[143:144], v[112:113]
	v_add_f64 v[88:89], v[90:91], v[88:89]
	v_add_f64 v[112:113], v[183:184], v[116:117]
	v_mul_f64 v[114:115], v[92:93], s[24:25]
	v_fma_f64 v[116:117], v[110:111], s[10:11], -v[149:150]
	v_fma_f64 v[141:142], v[110:111], s[4:5], -v[141:142]
	v_add_f64 v[94:95], v[94:95], v[106:107]
	v_add_f64 v[131:132], v[175:176], v[161:162]
	;; [unrolled: 1-line block ×5, first 2 shown]
	v_mul_f64 v[82:83], v[92:93], s[28:29]
	v_add_f64 v[116:117], v[116:117], v[123:124]
	v_add_f64 v[76:77], v[76:77], v[80:81]
	v_mul_f64 v[80:81], v[78:79], s[34:35]
	v_fma_f64 v[147:148], v[110:111], s[16:17], -v[147:148]
	v_fma_f64 v[187:188], v[110:111], s[10:11], v[149:150]
	v_add_f64 v[84:85], v[86:87], v[84:85]
	v_add_f64 v[86:87], v[145:146], v[118:119]
	;; [unrolled: 1-line block ×3, first 2 shown]
	v_mul_f64 v[129:130], v[92:93], s[34:35]
	v_fma_f64 v[92:93], v[110:111], s[6:7], v[114:115]
	v_fma_f64 v[114:115], v[110:111], s[6:7], -v[114:115]
	v_add_f64 v[106:107], v[167:168], v[153:154]
	v_add_f64 v[90:91], v[133:134], v[121:122]
	;; [unrolled: 1-line block ×4, first 2 shown]
	v_fma_f64 v[135:136], v[110:111], s[26:27], v[82:83]
	v_fma_f64 v[123:124], v[110:111], s[14:15], v[129:130]
	v_fma_f64 v[129:130], v[110:111], s[14:15], -v[129:130]
	v_add_f64 v[92:93], v[92:93], v[131:132]
	v_fma_f64 v[82:83], v[110:111], s[26:27], -v[82:83]
	v_add_f64 v[110:111], v[114:115], v[125:126]
	v_mul_f64 v[114:115], v[78:79], s[36:37]
	v_mul_f64 v[131:132], v[78:79], s[46:47]
	v_add_f64 v[121:122], v[173:174], v[159:160]
	v_add_f64 v[106:107], v[181:182], v[106:107]
	;; [unrolled: 1-line block ×3, first 2 shown]
	v_fma_f64 v[127:128], v[76:77], s[14:15], v[80:81]
	v_mul_f64 v[129:130], v[78:79], s[44:45]
	v_fma_f64 v[80:81], v[76:77], s[14:15], -v[80:81]
	v_add_f64 v[123:124], v[123:124], v[133:134]
	v_add_f64 v[42:43], v[82:83], v[42:43]
	v_fma_f64 v[82:83], v[76:77], s[30:31], v[114:115]
	v_fma_f64 v[114:115], v[76:77], s[30:31], -v[114:115]
	v_add_f64 v[90:91], v[147:148], v[90:91]
	v_add_f64 v[104:105], v[127:128], v[104:105]
	v_mul_f64 v[127:128], v[78:79], s[42:43]
	v_fma_f64 v[133:134], v[76:77], s[16:17], v[129:130]
	v_fma_f64 v[129:130], v[76:77], s[16:17], -v[129:130]
	v_add_f64 v[80:81], v[80:81], v[94:95]
	v_fma_f64 v[94:95], v[76:77], s[6:7], v[131:132]
	v_add_f64 v[121:122], v[187:188], v[121:122]
	v_add_f64 v[82:83], v[82:83], v[106:107]
	;; [unrolled: 1-line block ×3, first 2 shown]
	v_fma_f64 v[108:109], v[76:77], s[6:7], -v[131:132]
	v_fma_f64 v[114:115], v[76:77], s[4:5], v[127:128]
	v_add_f64 v[86:87], v[129:130], v[86:87]
	v_mul_f64 v[129:130], v[78:79], s[28:29]
	v_fma_f64 v[127:128], v[76:77], s[4:5], -v[127:128]
	v_add_f64 v[94:95], v[94:95], v[118:119]
	v_mul_f64 v[118:119], v[78:79], s[54:55]
	v_add_f64 v[70:71], v[70:71], -v[74:75]
	v_add_f64 v[90:91], v[108:109], v[90:91]
	v_add_f64 v[108:109], v[114:115], v[121:122]
	v_mul_f64 v[74:75], v[78:79], s[48:49]
	v_fma_f64 v[78:79], v[76:77], s[26:27], v[129:130]
	v_add_f64 v[114:115], v[127:128], v[116:117]
	v_fma_f64 v[116:117], v[76:77], s[26:27], -v[129:130]
	v_fma_f64 v[121:122], v[76:77], s[20:21], v[118:119]
	v_fma_f64 v[118:119], v[76:77], s[20:21], -v[118:119]
	v_add_f64 v[54:55], v[54:55], v[72:73]
	v_mul_f64 v[72:73], v[70:71], s[18:19]
	v_fma_f64 v[127:128], v[76:77], s[10:11], v[74:75]
	v_add_f64 v[78:79], v[78:79], v[92:93]
	v_fma_f64 v[74:75], v[76:77], s[10:11], -v[74:75]
	v_add_f64 v[76:77], v[116:117], v[110:111]
	v_mul_f64 v[92:93], v[70:71], s[50:51]
	v_add_f64 v[110:111], v[121:122], v[123:124]
	v_add_f64 v[116:117], v[118:119], v[125:126]
	v_fma_f64 v[118:119], v[54:55], s[16:17], v[72:73]
	v_mul_f64 v[121:122], v[70:71], s[48:49]
	v_fma_f64 v[72:73], v[54:55], s[16:17], -v[72:73]
	v_mul_f64 v[123:124], v[70:71], s[42:43]
	v_add_f64 v[42:43], v[74:75], v[42:43]
	v_fma_f64 v[74:75], v[54:55], s[26:27], v[92:93]
	v_fma_f64 v[92:93], v[54:55], s[26:27], -v[92:93]
	v_add_f64 v[48:49], v[48:49], -v[52:53]
	v_add_f64 v[104:105], v[118:119], v[104:105]
	v_mul_f64 v[118:119], v[70:71], s[36:37]
	v_fma_f64 v[125:126], v[54:55], s[10:11], v[121:122]
	v_fma_f64 v[121:122], v[54:55], s[10:11], -v[121:122]
	v_add_f64 v[72:73], v[72:73], v[80:81]
	v_fma_f64 v[80:81], v[54:55], s[4:5], v[123:124]
	v_add_f64 v[74:75], v[74:75], v[82:83]
	v_add_f64 v[82:83], v[92:93], v[106:107]
	v_fma_f64 v[92:93], v[54:55], s[4:5], -v[123:124]
	v_fma_f64 v[106:107], v[54:55], s[30:31], v[118:119]
	v_fma_f64 v[118:119], v[54:55], s[30:31], -v[118:119]
	v_add_f64 v[86:87], v[121:122], v[86:87]
	v_mul_f64 v[121:122], v[70:71], s[52:53]
	v_add_f64 v[80:81], v[80:81], v[94:95]
	v_mul_f64 v[94:95], v[70:71], s[24:25]
	v_mul_f64 v[52:53], v[70:71], s[22:23]
	v_add_f64 v[90:91], v[92:93], v[90:91]
	v_add_f64 v[92:93], v[106:107], v[108:109]
	;; [unrolled: 1-line block ×4, first 2 shown]
	v_fma_f64 v[70:71], v[54:55], s[14:15], v[121:122]
	v_fma_f64 v[108:109], v[54:55], s[14:15], -v[121:122]
	v_fma_f64 v[114:115], v[54:55], s[6:7], v[94:95]
	v_mul_f64 v[50:51], v[48:49], s[22:23]
	v_fma_f64 v[118:119], v[54:55], s[20:21], v[52:53]
	v_fma_f64 v[52:53], v[54:55], s[20:21], -v[52:53]
	v_fma_f64 v[94:95], v[54:55], s[6:7], -v[94:95]
	v_add_f64 v[38:39], v[38:39], -v[44:45]
	v_add_f64 v[70:71], v[70:71], v[78:79]
	v_add_f64 v[54:55], v[108:109], v[76:77]
	;; [unrolled: 1-line block ×3, first 2 shown]
	v_mul_f64 v[78:79], v[48:49], s[44:45]
	v_fma_f64 v[108:109], v[46:47], s[20:21], v[50:51]
	v_mul_f64 v[110:111], v[48:49], s[24:25]
	v_add_f64 v[42:43], v[52:53], v[42:43]
	v_fma_f64 v[50:51], v[46:47], s[20:21], -v[50:51]
	v_mul_f64 v[52:53], v[48:49], s[28:29]
	v_add_f64 v[94:95], v[94:95], v[116:117]
	v_mul_f64 v[44:45], v[48:49], s[38:39]
	v_fma_f64 v[114:115], v[46:47], s[16:17], v[78:79]
	v_fma_f64 v[78:79], v[46:47], s[16:17], -v[78:79]
	v_add_f64 v[104:105], v[108:109], v[104:105]
	v_mul_f64 v[108:109], v[48:49], s[52:53]
	v_fma_f64 v[116:117], v[46:47], s[6:7], v[110:111]
	v_fma_f64 v[110:111], v[46:47], s[6:7], -v[110:111]
	v_add_f64 v[50:51], v[50:51], v[72:73]
	v_fma_f64 v[72:73], v[46:47], s[26:27], v[52:53]
	v_fma_f64 v[52:53], v[46:47], s[26:27], -v[52:53]
	v_add_f64 v[78:79], v[78:79], v[82:83]
	v_add_f64 v[112:113], v[133:134], v[112:113]
	v_fma_f64 v[82:83], v[46:47], s[14:15], v[108:109]
	v_add_f64 v[36:37], v[36:37], v[40:41]
	v_add_f64 v[86:87], v[110:111], v[86:87]
	v_mul_f64 v[110:111], v[48:49], s[40:41]
	v_add_f64 v[72:73], v[72:73], v[80:81]
	v_fma_f64 v[80:81], v[46:47], s[14:15], -v[108:109]
	v_mul_f64 v[108:109], v[48:49], s[36:37]
	v_add_f64 v[52:53], v[52:53], v[90:91]
	v_add_f64 v[82:83], v[82:83], v[92:93]
	v_mul_f64 v[40:41], v[38:39], s[28:29]
	v_add_f64 v[88:89], v[179:180], v[165:166]
	v_fma_f64 v[48:49], v[46:47], s[10:11], v[110:111]
	v_fma_f64 v[90:91], v[46:47], s[10:11], -v[110:111]
	v_add_f64 v[80:81], v[80:81], v[106:107]
	v_fma_f64 v[92:93], v[46:47], s[30:31], v[108:109]
	v_fma_f64 v[106:107], v[46:47], s[30:31], -v[108:109]
	v_fma_f64 v[108:109], v[46:47], s[4:5], v[44:45]
	v_fma_f64 v[44:45], v[46:47], s[4:5], -v[44:45]
	v_add_f64 v[112:113], v[125:126], v[112:113]
	v_add_f64 v[48:49], v[48:49], v[70:71]
	;; [unrolled: 1-line block ×3, first 2 shown]
	v_mul_f64 v[70:71], v[38:39], s[38:39]
	v_add_f64 v[46:47], v[92:93], v[76:77]
	v_fma_f64 v[90:91], v[36:37], s[26:27], v[40:41]
	v_mul_f64 v[92:93], v[38:39], s[34:35]
	v_fma_f64 v[40:41], v[36:37], s[26:27], -v[40:41]
	v_add_f64 v[42:43], v[44:45], v[42:43]
	v_mul_f64 v[44:45], v[38:39], s[54:55]
	v_add_f64 v[88:89], v[135:136], v[88:89]
	v_add_f64 v[74:75], v[114:115], v[74:75]
	;; [unrolled: 1-line block ×4, first 2 shown]
	v_fma_f64 v[94:95], v[36:37], s[4:5], v[70:71]
	v_fma_f64 v[70:71], v[36:37], s[4:5], -v[70:71]
	v_add_f64 v[90:91], v[90:91], v[104:105]
	v_mul_f64 v[104:105], v[38:39], s[24:25]
	v_fma_f64 v[106:107], v[36:37], s[14:15], v[92:93]
	v_add_f64 v[40:41], v[40:41], v[50:51]
	v_fma_f64 v[50:51], v[36:37], s[14:15], -v[92:93]
	v_fma_f64 v[92:93], v[36:37], s[20:21], v[44:45]
	v_add_f64 v[88:89], v[127:128], v[88:89]
	v_add_f64 v[74:75], v[94:95], v[74:75]
	;; [unrolled: 1-line block ×3, first 2 shown]
	v_fma_f64 v[44:45], v[36:37], s[20:21], -v[44:45]
	v_fma_f64 v[70:71], v[36:37], s[6:7], v[104:105]
	v_add_f64 v[94:95], v[106:107], v[112:113]
	v_mul_f64 v[106:107], v[38:39], s[36:37]
	v_add_f64 v[72:73], v[92:93], v[72:73]
	v_mul_f64 v[92:93], v[38:39], s[48:49]
	v_add_f64 v[32:33], v[32:33], -v[34:35]
	v_add_f64 v[88:89], v[118:119], v[88:89]
	v_add_f64 v[50:51], v[50:51], v[86:87]
	v_fma_f64 v[86:87], v[36:37], s[6:7], -v[104:105]
	v_add_f64 v[44:45], v[44:45], v[52:53]
	v_add_f64 v[52:53], v[70:71], v[82:83]
	v_fma_f64 v[34:35], v[36:37], s[30:31], v[106:107]
	v_fma_f64 v[70:71], v[36:37], s[30:31], -v[106:107]
	v_mul_f64 v[38:39], v[38:39], s[18:19]
	v_fma_f64 v[82:83], v[36:37], s[10:11], v[92:93]
	v_add_f64 v[28:29], v[28:29], v[30:31]
	v_mul_f64 v[30:31], v[32:33], s[36:37]
	v_add_f64 v[88:89], v[108:109], v[88:89]
	v_add_f64 v[80:81], v[86:87], v[80:81]
	v_fma_f64 v[86:87], v[36:37], s[10:11], -v[92:93]
	v_add_f64 v[34:35], v[34:35], v[48:49]
	v_add_f64 v[48:49], v[70:71], v[54:55]
	v_fma_f64 v[54:55], v[36:37], s[16:17], v[38:39]
	v_mul_f64 v[70:71], v[32:33], s[46:47]
	v_add_f64 v[46:47], v[82:83], v[46:47]
	v_fma_f64 v[36:37], v[36:37], s[16:17], -v[38:39]
	v_fma_f64 v[38:39], v[28:29], s[30:31], v[30:31]
	v_mul_f64 v[82:83], v[32:33], s[28:29]
	v_fma_f64 v[30:31], v[28:29], s[30:31], -v[30:31]
	v_add_f64 v[76:77], v[86:87], v[76:77]
	v_add_f64 v[54:55], v[54:55], v[88:89]
	v_fma_f64 v[86:87], v[28:29], s[6:7], v[70:71]
	v_mul_f64 v[88:89], v[32:33], s[48:49]
	v_fma_f64 v[92:93], v[28:29], s[6:7], -v[70:71]
	v_add_f64 v[36:37], v[36:37], v[42:43]
	v_fma_f64 v[42:43], v[28:29], s[26:27], v[82:83]
	v_add_f64 v[70:71], v[30:31], v[40:41]
	v_fma_f64 v[30:31], v[28:29], s[26:27], -v[82:83]
	v_add_f64 v[38:39], v[38:39], v[90:91]
	v_add_f64 v[40:41], v[86:87], v[74:75]
	v_fma_f64 v[74:75], v[28:29], s[10:11], v[88:89]
	v_fma_f64 v[82:83], v[28:29], s[10:11], -v[88:89]
	v_mul_f64 v[86:87], v[32:33], s[22:23]
	v_mul_f64 v[88:89], v[32:33], s[38:39]
	v_add_f64 v[78:79], v[92:93], v[78:79]
	v_add_f64 v[30:31], v[30:31], v[50:51]
	v_mul_f64 v[50:51], v[32:33], s[18:19]
	v_mul_f64 v[32:33], v[32:33], s[52:53]
	v_add_f64 v[72:73], v[74:75], v[72:73]
	v_add_f64 v[44:45], v[82:83], v[44:45]
	v_fma_f64 v[74:75], v[28:29], s[20:21], v[86:87]
	v_fma_f64 v[82:83], v[28:29], s[20:21], -v[86:87]
	v_fma_f64 v[86:87], v[28:29], s[4:5], v[88:89]
	v_fma_f64 v[88:89], v[28:29], s[4:5], -v[88:89]
	;; [unrolled: 2-line block ×4, first 2 shown]
	v_add_f64 v[42:43], v[42:43], v[94:95]
	v_add_f64 v[32:33], v[74:75], v[52:53]
	;; [unrolled: 1-line block ×9, first 2 shown]
	s_waitcnt lgkmcnt(0)
	s_barrier
	ds_write2_b64 v59, v[84:85], v[38:39] offset1:34
	ds_write2_b64 v59, v[40:41], v[42:43] offset0:68 offset1:102
	ds_write2_b64 v59, v[72:73], v[32:33] offset0:136 offset1:170
	;; [unrolled: 1-line block ×3, first 2 shown]
	v_add_u32_e32 v32, 0x800, v59
	ds_write2_b64 v32, v[54:55], v[28:29] offset0:16 offset1:50
	ds_write2_b64 v32, v[50:51], v[48:49] offset0:84 offset1:118
	ds_write2_b64 v32, v[52:53], v[44:45] offset0:152 offset1:186
	ds_write2_b64 v32, v[30:31], v[78:79] offset0:220 offset1:254
	ds_write_b64 v59, v[70:71] offset:4352
	v_add_u32_e32 v28, 0xc00, v99
	v_add_u32_e32 v32, 0x1000, v99
	s_waitcnt lgkmcnt(0)
	s_barrier
	ds_read2_b64 v[36:39], v28 offset0:92 offset1:194
	ds_read2_b64 v[28:31], v99 offset0:68 offset1:136
	;; [unrolled: 1-line block ×3, first 2 shown]
	v_add_u32_e32 v32, 0x400, v99
	v_add_u32_e32 v52, 0x1800, v99
	;; [unrolled: 1-line block ×3, first 2 shown]
	ds_read2_b64 v[32:35], v32 offset0:76 offset1:144
	ds_read2_b64 v[48:51], v52 offset0:14 offset1:82
	;; [unrolled: 1-line block ×4, first 2 shown]
	ds_read_b64 v[72:73], v120
	ds_read_b64 v[74:75], v99 offset:8432
	s_and_saveexec_b64 s[4:5], s[2:3]
	s_cbranch_execz .LBB0_22
; %bb.21:
	ds_read_b64 v[70:71], v99 offset:4352
	ds_read_b64 v[56:57], v99 offset:8976
	v_mov_b32_e32 v58, v65
.LBB0_22:
	s_or_b64 exec, exec, s[4:5]
	s_and_saveexec_b64 s[4:5], s[0:1]
	s_cbranch_execz .LBB0_25
; %bb.23:
	v_mov_b32_e32 v65, 0
	v_lshlrev_b64 v[76:77], 4, v[64:65]
	v_mov_b32_e32 v59, s9
	v_add_co_u32_e32 v67, vcc, s8, v76
	v_addc_co_u32_e32 v76, vcc, v59, v77, vcc
	v_add_co_u32_e32 v84, vcc, 0x2000, v67
	v_mov_b32_e32 v67, v65
	v_addc_co_u32_e32 v85, vcc, 0, v76, vcc
	v_lshlrev_b64 v[76:77], 4, v[66:67]
	s_movk_i32 s0, 0x2000
	v_add_co_u32_e32 v67, vcc, s8, v76
	v_addc_co_u32_e32 v76, vcc, v59, v77, vcc
	v_add_co_u32_e32 v86, vcc, s0, v67
	v_mov_b32_e32 v104, v65
	v_addc_co_u32_e32 v87, vcc, 0, v76, vcc
	global_load_dwordx4 v[76:79], v[84:85], off offset:784
	global_load_dwordx4 v[80:83], v[86:87], off offset:784
	v_lshlrev_b64 v[84:85], 4, v[103:104]
	v_mov_b32_e32 v103, v65
	v_add_co_u32_e32 v67, vcc, s8, v84
	v_addc_co_u32_e32 v84, vcc, v59, v85, vcc
	v_add_co_u32_e32 v92, vcc, s0, v67
	v_addc_co_u32_e32 v93, vcc, 0, v84, vcc
	v_lshlrev_b64 v[84:85], 4, v[102:103]
	v_mov_b32_e32 v99, v65
	v_add_co_u32_e32 v67, vcc, s8, v84
	v_addc_co_u32_e32 v84, vcc, v59, v85, vcc
	v_add_co_u32_e32 v94, vcc, s0, v67
	v_lshlrev_b64 v[98:99], 4, v[98:99]
	v_addc_co_u32_e32 v95, vcc, 0, v84, vcc
	v_add_co_u32_e32 v67, vcc, s8, v98
	v_addc_co_u32_e32 v59, vcc, v59, v99, vcc
	v_add_co_u32_e32 v114, vcc, s0, v67
	v_addc_co_u32_e32 v115, vcc, 0, v59, vcc
	global_load_dwordx4 v[84:87], v[92:93], off offset:784
	global_load_dwordx4 v[88:91], v[94:95], off offset:784
	s_nop 0
	global_load_dwordx4 v[92:95], v[114:115], off offset:4048
	global_load_dwordx4 v[102:105], v[114:115], off offset:2960
	;; [unrolled: 1-line block ×4, first 2 shown]
	s_movk_i32 s1, 0x3000
	s_movk_i32 s4, 0x242
	s_waitcnt vmcnt(7)
	v_mul_f64 v[114:115], v[68:69], v[78:79]
	s_waitcnt lgkmcnt(0)
	v_mul_f64 v[78:79], v[74:75], v[78:79]
	s_waitcnt vmcnt(6)
	v_mul_f64 v[116:117], v[26:27], v[82:83]
	v_mul_f64 v[82:83], v[54:55], v[82:83]
	v_fma_f64 v[74:75], v[74:75], v[76:77], v[114:115]
	v_fma_f64 v[67:68], v[68:69], v[76:77], -v[78:79]
	v_fma_f64 v[54:55], v[54:55], v[80:81], v[116:117]
	v_fma_f64 v[26:27], v[26:27], v[80:81], -v[82:83]
	s_waitcnt vmcnt(3)
	v_mul_f64 v[122:123], v[20:21], v[94:95]
	v_mul_f64 v[94:95], v[48:49], v[94:95]
	;; [unrolled: 1-line block ×4, first 2 shown]
	s_waitcnt vmcnt(2)
	v_mul_f64 v[124:125], v[18:19], v[104:105]
	s_waitcnt vmcnt(0)
	v_mul_f64 v[128:129], v[10:11], v[112:113]
	v_mul_f64 v[112:113], v[38:39], v[112:113]
	;; [unrolled: 1-line block ×7, first 2 shown]
	v_fma_f64 v[50:51], v[50:51], v[88:89], v[120:121]
	v_fma_f64 v[76:77], v[22:23], v[88:89], -v[90:91]
	v_fma_f64 v[48:49], v[48:49], v[92:93], v[122:123]
	v_fma_f64 v[78:79], v[20:21], v[92:93], -v[94:95]
	v_fma_f64 v[80:81], v[46:47], v[102:103], v[124:125]
	v_fma_f64 v[88:89], v[38:39], v[110:111], v[128:129]
	v_fma_f64 v[90:91], v[10:11], v[110:111], -v[112:113]
	v_fma_f64 v[52:53], v[52:53], v[84:85], v[118:119]
	v_fma_f64 v[24:25], v[24:25], v[84:85], -v[86:87]
	;; [unrolled: 2-line block ×3, first 2 shown]
	v_fma_f64 v[82:83], v[18:19], v[102:103], -v[104:105]
	v_add_f64 v[22:23], v[42:43], -v[54:55]
	v_add_f64 v[46:47], v[34:35], -v[50:51]
	;; [unrolled: 1-line block ×15, first 2 shown]
	v_fma_f64 v[88:89], v[72:73], 2.0, -v[80:81]
	v_fma_f64 v[86:87], v[62:63], 2.0, -v[78:79]
	;; [unrolled: 1-line block ×4, first 2 shown]
	v_mov_b32_e32 v0, s13
	v_add_co_u32_e32 v28, vcc, s12, v96
	v_fma_f64 v[10:11], v[36:37], 2.0, -v[18:19]
	v_fma_f64 v[36:37], v[14:15], 2.0, -v[20:21]
	;; [unrolled: 1-line block ×7, first 2 shown]
	v_addc_co_u32_e32 v29, vcc, v0, v97, vcc
	v_add_co_u32_e32 v0, vcc, v28, v98
	v_fma_f64 v[4:5], v[4:5], 2.0, -v[48:49]
	v_addc_co_u32_e32 v1, vcc, v29, v99, vcc
	v_add_co_u32_e32 v2, vcc, s0, v0
	v_fma_f64 v[38:39], v[42:43], 2.0, -v[22:23]
	v_fma_f64 v[42:43], v[34:35], 2.0, -v[46:47]
	v_addc_co_u32_e32 v3, vcc, 0, v1, vcc
	v_fma_f64 v[12:13], v[12:13], 2.0, -v[24:25]
	global_store_dwordx4 v[0:1], v[86:89], off
	global_store_dwordx4 v[2:3], v[78:81], off offset:1056
	global_store_dwordx4 v[0:1], v[82:85], off offset:1088
	;; [unrolled: 1-line block ×6, first 2 shown]
	v_add_co_u32_e32 v2, vcc, s1, v0
	v_addc_co_u32_e32 v3, vcc, 0, v1, vcc
	s_movk_i32 s1, 0x1000
	v_add_co_u32_e32 v4, vcc, s1, v0
	s_mov_b32 s1, 0xe2c4a689
	v_mul_hi_u32 v6, v66, s1
	v_add_f64 v[16:17], v[8:9], -v[67:68]
	v_addc_co_u32_e32 v5, vcc, 0, v1, vcc
	global_store_dwordx4 v[2:3], v[48:51], off offset:224
	global_store_dwordx4 v[4:5], v[40:43], off offset:256
	;; [unrolled: 1-line block ×5, first 2 shown]
	v_lshrrev_b32_e32 v2, 9, v6
	v_mad_u32_u24 v2, v2, s4, v66
	v_mov_b32_e32 v3, v65
	v_lshlrev_b64 v[2:3], 4, v[2:3]
	v_mul_hi_u32 v4, v64, s1
	v_add_co_u32_e32 v2, vcc, v28, v2
	v_addc_co_u32_e32 v3, vcc, v29, v3, vcc
	v_fma_f64 v[8:9], v[8:9], 2.0, -v[16:17]
	global_store_dwordx4 v[2:3], v[36:39], off
	v_add_co_u32_e32 v2, vcc, s0, v2
	v_addc_co_u32_e32 v3, vcc, 0, v3, vcc
	global_store_dwordx4 v[2:3], v[20:23], off offset:1056
	v_lshrrev_b32_e32 v2, 9, v4
	v_mad_u32_u24 v64, v2, s4, v64
	v_lshlrev_b64 v[2:3], 4, v[64:65]
	v_add_co_u32_e32 v2, vcc, v28, v2
	v_addc_co_u32_e32 v3, vcc, v29, v3, vcc
	global_store_dwordx4 v[2:3], v[8:11], off
	v_add_co_u32_e32 v2, vcc, 0x2000, v2
	v_addc_co_u32_e32 v3, vcc, 0, v3, vcc
	global_store_dwordx4 v[2:3], v[16:19], off offset:1056
	s_and_b64 exec, exec, s[2:3]
	s_cbranch_execz .LBB0_25
; %bb.24:
	v_mov_b32_e32 v59, v65
	v_lshlrev_b64 v[2:3], 4, v[58:59]
	v_mov_b32_e32 v4, s9
	v_add_co_u32_e32 v2, vcc, s8, v2
	v_addc_co_u32_e32 v3, vcc, v4, v3, vcc
	v_add_co_u32_e32 v2, vcc, 0x2000, v2
	v_addc_co_u32_e32 v3, vcc, 0, v3, vcc
	global_load_dwordx4 v[2:5], v[2:3], off offset:784
	v_add_co_u32_e32 v10, vcc, 0x2000, v0
	v_addc_co_u32_e32 v11, vcc, 0, v1, vcc
	v_add_co_u32_e32 v0, vcc, 0x4000, v0
	v_addc_co_u32_e32 v1, vcc, 0, v1, vcc
	s_waitcnt vmcnt(0)
	v_mul_f64 v[6:7], v[56:57], v[4:5]
	v_mul_f64 v[4:5], v[100:101], v[4:5]
	v_fma_f64 v[6:7], v[100:101], v[2:3], -v[6:7]
	v_fma_f64 v[4:5], v[56:57], v[2:3], v[4:5]
	v_add_f64 v[2:3], v[60:61], -v[6:7]
	v_add_f64 v[4:5], v[70:71], -v[4:5]
	v_fma_f64 v[6:7], v[60:61], 2.0, -v[2:3]
	v_fma_f64 v[8:9], v[70:71], 2.0, -v[4:5]
	global_store_dwordx4 v[10:11], v[6:9], off offset:512
	global_store_dwordx4 v[0:1], v[2:5], off offset:1568
.LBB0_25:
	s_endpgm
	.section	.rodata,"a",@progbits
	.p2align	6, 0x0
	.amdhsa_kernel fft_rtc_fwd_len1156_factors_17_2_17_2_wgs_204_tpt_68_halfLds_dp_ip_CI_unitstride_sbrr_dirReg
		.amdhsa_group_segment_fixed_size 0
		.amdhsa_private_segment_fixed_size 0
		.amdhsa_kernarg_size 88
		.amdhsa_user_sgpr_count 6
		.amdhsa_user_sgpr_private_segment_buffer 1
		.amdhsa_user_sgpr_dispatch_ptr 0
		.amdhsa_user_sgpr_queue_ptr 0
		.amdhsa_user_sgpr_kernarg_segment_ptr 1
		.amdhsa_user_sgpr_dispatch_id 0
		.amdhsa_user_sgpr_flat_scratch_init 0
		.amdhsa_user_sgpr_private_segment_size 0
		.amdhsa_uses_dynamic_stack 0
		.amdhsa_system_sgpr_private_segment_wavefront_offset 0
		.amdhsa_system_sgpr_workgroup_id_x 1
		.amdhsa_system_sgpr_workgroup_id_y 0
		.amdhsa_system_sgpr_workgroup_id_z 0
		.amdhsa_system_sgpr_workgroup_info 0
		.amdhsa_system_vgpr_workitem_id 0
		.amdhsa_next_free_vgpr 198
		.amdhsa_next_free_sgpr 60
		.amdhsa_reserve_vcc 1
		.amdhsa_reserve_flat_scratch 0
		.amdhsa_float_round_mode_32 0
		.amdhsa_float_round_mode_16_64 0
		.amdhsa_float_denorm_mode_32 3
		.amdhsa_float_denorm_mode_16_64 3
		.amdhsa_dx10_clamp 1
		.amdhsa_ieee_mode 1
		.amdhsa_fp16_overflow 0
		.amdhsa_exception_fp_ieee_invalid_op 0
		.amdhsa_exception_fp_denorm_src 0
		.amdhsa_exception_fp_ieee_div_zero 0
		.amdhsa_exception_fp_ieee_overflow 0
		.amdhsa_exception_fp_ieee_underflow 0
		.amdhsa_exception_fp_ieee_inexact 0
		.amdhsa_exception_int_div_zero 0
	.end_amdhsa_kernel
	.text
.Lfunc_end0:
	.size	fft_rtc_fwd_len1156_factors_17_2_17_2_wgs_204_tpt_68_halfLds_dp_ip_CI_unitstride_sbrr_dirReg, .Lfunc_end0-fft_rtc_fwd_len1156_factors_17_2_17_2_wgs_204_tpt_68_halfLds_dp_ip_CI_unitstride_sbrr_dirReg
                                        ; -- End function
	.section	.AMDGPU.csdata,"",@progbits
; Kernel info:
; codeLenInByte = 17752
; NumSgprs: 64
; NumVgprs: 198
; ScratchSize: 0
; MemoryBound: 1
; FloatMode: 240
; IeeeMode: 1
; LDSByteSize: 0 bytes/workgroup (compile time only)
; SGPRBlocks: 7
; VGPRBlocks: 49
; NumSGPRsForWavesPerEU: 64
; NumVGPRsForWavesPerEU: 198
; Occupancy: 1
; WaveLimiterHint : 1
; COMPUTE_PGM_RSRC2:SCRATCH_EN: 0
; COMPUTE_PGM_RSRC2:USER_SGPR: 6
; COMPUTE_PGM_RSRC2:TRAP_HANDLER: 0
; COMPUTE_PGM_RSRC2:TGID_X_EN: 1
; COMPUTE_PGM_RSRC2:TGID_Y_EN: 0
; COMPUTE_PGM_RSRC2:TGID_Z_EN: 0
; COMPUTE_PGM_RSRC2:TIDIG_COMP_CNT: 0
	.type	__hip_cuid_ac7032f9df571935,@object ; @__hip_cuid_ac7032f9df571935
	.section	.bss,"aw",@nobits
	.globl	__hip_cuid_ac7032f9df571935
__hip_cuid_ac7032f9df571935:
	.byte	0                               ; 0x0
	.size	__hip_cuid_ac7032f9df571935, 1

	.ident	"AMD clang version 19.0.0git (https://github.com/RadeonOpenCompute/llvm-project roc-6.4.0 25133 c7fe45cf4b819c5991fe208aaa96edf142730f1d)"
	.section	".note.GNU-stack","",@progbits
	.addrsig
	.addrsig_sym __hip_cuid_ac7032f9df571935
	.amdgpu_metadata
---
amdhsa.kernels:
  - .args:
      - .actual_access:  read_only
        .address_space:  global
        .offset:         0
        .size:           8
        .value_kind:     global_buffer
      - .offset:         8
        .size:           8
        .value_kind:     by_value
      - .actual_access:  read_only
        .address_space:  global
        .offset:         16
        .size:           8
        .value_kind:     global_buffer
      - .actual_access:  read_only
        .address_space:  global
        .offset:         24
        .size:           8
        .value_kind:     global_buffer
      - .offset:         32
        .size:           8
        .value_kind:     by_value
      - .actual_access:  read_only
        .address_space:  global
        .offset:         40
        .size:           8
        .value_kind:     global_buffer
      - .actual_access:  read_only
        .address_space:  global
        .offset:         48
        .size:           8
        .value_kind:     global_buffer
      - .offset:         56
        .size:           4
        .value_kind:     by_value
      - .actual_access:  read_only
        .address_space:  global
        .offset:         64
        .size:           8
        .value_kind:     global_buffer
      - .actual_access:  read_only
        .address_space:  global
        .offset:         72
        .size:           8
        .value_kind:     global_buffer
      - .address_space:  global
        .offset:         80
        .size:           8
        .value_kind:     global_buffer
    .group_segment_fixed_size: 0
    .kernarg_segment_align: 8
    .kernarg_segment_size: 88
    .language:       OpenCL C
    .language_version:
      - 2
      - 0
    .max_flat_workgroup_size: 204
    .name:           fft_rtc_fwd_len1156_factors_17_2_17_2_wgs_204_tpt_68_halfLds_dp_ip_CI_unitstride_sbrr_dirReg
    .private_segment_fixed_size: 0
    .sgpr_count:     64
    .sgpr_spill_count: 0
    .symbol:         fft_rtc_fwd_len1156_factors_17_2_17_2_wgs_204_tpt_68_halfLds_dp_ip_CI_unitstride_sbrr_dirReg.kd
    .uniform_work_group_size: 1
    .uses_dynamic_stack: false
    .vgpr_count:     198
    .vgpr_spill_count: 0
    .wavefront_size: 64
amdhsa.target:   amdgcn-amd-amdhsa--gfx906
amdhsa.version:
  - 1
  - 2
...

	.end_amdgpu_metadata
